;; amdgpu-corpus repo=ROCm/rocFFT kind=compiled arch=gfx1030 opt=O3
	.text
	.amdgcn_target "amdgcn-amd-amdhsa--gfx1030"
	.amdhsa_code_object_version 6
	.protected	fft_rtc_back_len748_factors_17_4_11_wgs_204_tpt_68_halfLds_dp_ip_CI_unitstride_sbrr_C2R_dirReg ; -- Begin function fft_rtc_back_len748_factors_17_4_11_wgs_204_tpt_68_halfLds_dp_ip_CI_unitstride_sbrr_C2R_dirReg
	.globl	fft_rtc_back_len748_factors_17_4_11_wgs_204_tpt_68_halfLds_dp_ip_CI_unitstride_sbrr_C2R_dirReg
	.p2align	8
	.type	fft_rtc_back_len748_factors_17_4_11_wgs_204_tpt_68_halfLds_dp_ip_CI_unitstride_sbrr_C2R_dirReg,@function
fft_rtc_back_len748_factors_17_4_11_wgs_204_tpt_68_halfLds_dp_ip_CI_unitstride_sbrr_C2R_dirReg: ; @fft_rtc_back_len748_factors_17_4_11_wgs_204_tpt_68_halfLds_dp_ip_CI_unitstride_sbrr_C2R_dirReg
; %bb.0:
	s_load_dwordx4 s[8:11], s[4:5], 0x0
	v_mul_u32_u24_e32 v1, 0x3c4, v0
	s_clause 0x1
	s_load_dwordx2 s[2:3], s[4:5], 0x50
	s_load_dwordx2 s[12:13], s[4:5], 0x18
	v_mov_b32_e32 v5, 0
	v_mov_b32_e32 v3, 0
	;; [unrolled: 1-line block ×3, first 2 shown]
	v_lshrrev_b32_e32 v1, 16, v1
	v_mad_u64_u32 v[1:2], null, s6, 3, v[1:2]
	v_mov_b32_e32 v2, v5
	v_mov_b32_e32 v10, v2
	;; [unrolled: 1-line block ×3, first 2 shown]
	s_waitcnt lgkmcnt(0)
	v_cmp_lt_u64_e64 s0, s[10:11], 2
	s_and_b32 vcc_lo, exec_lo, s0
	s_cbranch_vccnz .LBB0_8
; %bb.1:
	s_load_dwordx2 s[0:1], s[4:5], 0x10
	v_mov_b32_e32 v3, 0
	v_mov_b32_e32 v8, v2
	s_add_u32 s6, s12, 8
	v_mov_b32_e32 v4, 0
	v_mov_b32_e32 v7, v1
	s_addc_u32 s7, s13, 0
	s_mov_b64 s[16:17], 1
	s_waitcnt lgkmcnt(0)
	s_add_u32 s14, s0, 8
	s_addc_u32 s15, s1, 0
.LBB0_2:                                ; =>This Inner Loop Header: Depth=1
	s_load_dwordx2 s[18:19], s[14:15], 0x0
                                        ; implicit-def: $vgpr9_vgpr10
	s_mov_b32 s0, exec_lo
	s_waitcnt lgkmcnt(0)
	v_or_b32_e32 v6, s19, v8
	v_cmpx_ne_u64_e32 0, v[5:6]
	s_xor_b32 s1, exec_lo, s0
	s_cbranch_execz .LBB0_4
; %bb.3:                                ;   in Loop: Header=BB0_2 Depth=1
	v_cvt_f32_u32_e32 v2, s18
	v_cvt_f32_u32_e32 v6, s19
	s_sub_u32 s0, 0, s18
	s_subb_u32 s20, 0, s19
	v_fmac_f32_e32 v2, 0x4f800000, v6
	v_rcp_f32_e32 v2, v2
	v_mul_f32_e32 v2, 0x5f7ffffc, v2
	v_mul_f32_e32 v6, 0x2f800000, v2
	v_trunc_f32_e32 v6, v6
	v_fmac_f32_e32 v2, 0xcf800000, v6
	v_cvt_u32_f32_e32 v6, v6
	v_cvt_u32_f32_e32 v2, v2
	v_mul_lo_u32 v9, s0, v6
	v_mul_hi_u32 v10, s0, v2
	v_mul_lo_u32 v11, s20, v2
	v_add_nc_u32_e32 v9, v10, v9
	v_mul_lo_u32 v10, s0, v2
	v_add_nc_u32_e32 v9, v9, v11
	v_mul_hi_u32 v11, v2, v10
	v_mul_lo_u32 v12, v2, v9
	v_mul_hi_u32 v13, v2, v9
	v_mul_hi_u32 v14, v6, v10
	v_mul_lo_u32 v10, v6, v10
	v_mul_hi_u32 v15, v6, v9
	v_mul_lo_u32 v9, v6, v9
	v_add_co_u32 v11, vcc_lo, v11, v12
	v_add_co_ci_u32_e32 v12, vcc_lo, 0, v13, vcc_lo
	v_add_co_u32 v10, vcc_lo, v11, v10
	v_add_co_ci_u32_e32 v10, vcc_lo, v12, v14, vcc_lo
	v_add_co_ci_u32_e32 v11, vcc_lo, 0, v15, vcc_lo
	v_add_co_u32 v9, vcc_lo, v10, v9
	v_add_co_ci_u32_e32 v10, vcc_lo, 0, v11, vcc_lo
	v_add_co_u32 v2, vcc_lo, v2, v9
	v_add_co_ci_u32_e32 v6, vcc_lo, v6, v10, vcc_lo
	v_mul_hi_u32 v9, s0, v2
	v_mul_lo_u32 v11, s20, v2
	v_mul_lo_u32 v10, s0, v6
	v_add_nc_u32_e32 v9, v9, v10
	v_mul_lo_u32 v10, s0, v2
	v_add_nc_u32_e32 v9, v9, v11
	v_mul_hi_u32 v11, v2, v10
	v_mul_lo_u32 v12, v2, v9
	v_mul_hi_u32 v13, v2, v9
	v_mul_hi_u32 v14, v6, v10
	v_mul_lo_u32 v10, v6, v10
	v_mul_hi_u32 v15, v6, v9
	v_mul_lo_u32 v9, v6, v9
	v_add_co_u32 v11, vcc_lo, v11, v12
	v_add_co_ci_u32_e32 v12, vcc_lo, 0, v13, vcc_lo
	v_add_co_u32 v10, vcc_lo, v11, v10
	v_add_co_ci_u32_e32 v10, vcc_lo, v12, v14, vcc_lo
	v_add_co_ci_u32_e32 v11, vcc_lo, 0, v15, vcc_lo
	v_add_co_u32 v9, vcc_lo, v10, v9
	v_add_co_ci_u32_e32 v10, vcc_lo, 0, v11, vcc_lo
	v_add_co_u32 v2, vcc_lo, v2, v9
	v_add_co_ci_u32_e32 v6, vcc_lo, v6, v10, vcc_lo
	v_mul_hi_u32 v15, v7, v2
	v_mad_u64_u32 v[11:12], null, v8, v2, 0
	v_mad_u64_u32 v[9:10], null, v7, v6, 0
	v_mad_u64_u32 v[13:14], null, v8, v6, 0
	v_add_co_u32 v2, vcc_lo, v15, v9
	v_add_co_ci_u32_e32 v6, vcc_lo, 0, v10, vcc_lo
	v_add_co_u32 v2, vcc_lo, v2, v11
	v_add_co_ci_u32_e32 v2, vcc_lo, v6, v12, vcc_lo
	v_add_co_ci_u32_e32 v6, vcc_lo, 0, v14, vcc_lo
	v_add_co_u32 v2, vcc_lo, v2, v13
	v_add_co_ci_u32_e32 v6, vcc_lo, 0, v6, vcc_lo
	v_mul_lo_u32 v11, s19, v2
	v_mad_u64_u32 v[9:10], null, s18, v2, 0
	v_mul_lo_u32 v12, s18, v6
	v_sub_co_u32 v9, vcc_lo, v7, v9
	v_add3_u32 v10, v10, v12, v11
	v_sub_nc_u32_e32 v11, v8, v10
	v_subrev_co_ci_u32_e64 v11, s0, s19, v11, vcc_lo
	v_add_co_u32 v12, s0, v2, 2
	v_add_co_ci_u32_e64 v13, s0, 0, v6, s0
	v_sub_co_u32 v14, s0, v9, s18
	v_sub_co_ci_u32_e32 v10, vcc_lo, v8, v10, vcc_lo
	v_subrev_co_ci_u32_e64 v11, s0, 0, v11, s0
	v_cmp_le_u32_e32 vcc_lo, s18, v14
	v_cmp_eq_u32_e64 s0, s19, v10
	v_cndmask_b32_e64 v14, 0, -1, vcc_lo
	v_cmp_le_u32_e32 vcc_lo, s19, v11
	v_cndmask_b32_e64 v15, 0, -1, vcc_lo
	v_cmp_le_u32_e32 vcc_lo, s18, v9
	;; [unrolled: 2-line block ×3, first 2 shown]
	v_cndmask_b32_e64 v16, 0, -1, vcc_lo
	v_cmp_eq_u32_e32 vcc_lo, s19, v11
	v_cndmask_b32_e64 v9, v16, v9, s0
	v_cndmask_b32_e32 v11, v15, v14, vcc_lo
	v_add_co_u32 v14, vcc_lo, v2, 1
	v_add_co_ci_u32_e32 v15, vcc_lo, 0, v6, vcc_lo
	v_cmp_ne_u32_e32 vcc_lo, 0, v11
	v_cndmask_b32_e32 v10, v15, v13, vcc_lo
	v_cndmask_b32_e32 v11, v14, v12, vcc_lo
	v_cmp_ne_u32_e32 vcc_lo, 0, v9
	v_cndmask_b32_e32 v10, v6, v10, vcc_lo
	v_cndmask_b32_e32 v9, v2, v11, vcc_lo
.LBB0_4:                                ;   in Loop: Header=BB0_2 Depth=1
	s_andn2_saveexec_b32 s0, s1
	s_cbranch_execz .LBB0_6
; %bb.5:                                ;   in Loop: Header=BB0_2 Depth=1
	v_cvt_f32_u32_e32 v2, s18
	s_sub_i32 s1, 0, s18
	v_rcp_iflag_f32_e32 v2, v2
	v_mul_f32_e32 v2, 0x4f7ffffe, v2
	v_cvt_u32_f32_e32 v2, v2
	v_mul_lo_u32 v6, s1, v2
	v_mul_hi_u32 v6, v2, v6
	v_add_nc_u32_e32 v2, v2, v6
	v_mul_hi_u32 v2, v7, v2
	v_mul_lo_u32 v6, v2, s18
	v_add_nc_u32_e32 v9, 1, v2
	v_sub_nc_u32_e32 v6, v7, v6
	v_subrev_nc_u32_e32 v10, s18, v6
	v_cmp_le_u32_e32 vcc_lo, s18, v6
	v_cndmask_b32_e32 v6, v6, v10, vcc_lo
	v_cndmask_b32_e32 v2, v2, v9, vcc_lo
	v_mov_b32_e32 v10, v5
	v_cmp_le_u32_e32 vcc_lo, s18, v6
	v_add_nc_u32_e32 v9, 1, v2
	v_cndmask_b32_e32 v9, v2, v9, vcc_lo
.LBB0_6:                                ;   in Loop: Header=BB0_2 Depth=1
	s_or_b32 exec_lo, exec_lo, s0
	s_load_dwordx2 s[0:1], s[6:7], 0x0
	v_mul_lo_u32 v2, v10, s18
	v_mul_lo_u32 v6, v9, s19
	v_mad_u64_u32 v[11:12], null, v9, s18, 0
	s_add_u32 s16, s16, 1
	s_addc_u32 s17, s17, 0
	s_add_u32 s6, s6, 8
	s_addc_u32 s7, s7, 0
	;; [unrolled: 2-line block ×3, first 2 shown]
	v_add3_u32 v2, v12, v6, v2
	v_sub_co_u32 v6, vcc_lo, v7, v11
	v_sub_co_ci_u32_e32 v2, vcc_lo, v8, v2, vcc_lo
	s_waitcnt lgkmcnt(0)
	v_mul_lo_u32 v7, s1, v6
	v_mul_lo_u32 v2, s0, v2
	v_mad_u64_u32 v[3:4], null, s0, v6, v[3:4]
	v_cmp_ge_u64_e64 s0, s[16:17], s[10:11]
	s_and_b32 vcc_lo, exec_lo, s0
	v_add3_u32 v4, v7, v4, v2
	s_cbranch_vccnz .LBB0_8
; %bb.7:                                ;   in Loop: Header=BB0_2 Depth=1
	v_mov_b32_e32 v7, v9
	v_mov_b32_e32 v8, v10
	s_branch .LBB0_2
.LBB0_8:
	s_lshl_b64 s[0:1], s[10:11], 3
	v_mul_hi_u32 v2, 0xaaaaaaab, v1
	s_add_u32 s0, s12, s0
	s_addc_u32 s1, s13, s1
	s_load_dwordx2 s[4:5], s[4:5], 0x20
	s_load_dwordx2 s[0:1], s[0:1], 0x0
	v_mul_hi_u32 v5, 0x3c3c3c4, v0
	v_lshrrev_b32_e32 v2, 1, v2
	v_lshl_add_u32 v6, v2, 1, v2
	v_sub_nc_u32_e32 v1, v1, v6
	s_waitcnt lgkmcnt(0)
	v_cmp_gt_u64_e32 vcc_lo, s[4:5], v[9:10]
	v_mul_lo_u32 v7, s0, v10
	v_mul_lo_u32 v8, s1, v9
	v_mad_u64_u32 v[2:3], null, s0, v9, v[3:4]
	v_mul_u32_u24_e32 v4, 0x44, v5
	v_mul_u32_u24_e32 v1, 0x2ed, v1
	v_sub_nc_u32_e32 v84, v0, v4
	v_add3_u32 v3, v8, v3, v7
	v_lshlrev_b32_e32 v218, 4, v1
	v_lshlrev_b64 v[86:87], 4, v[2:3]
	s_and_saveexec_b32 s1, vcc_lo
	s_cbranch_execz .LBB0_12
; %bb.9:
	v_mov_b32_e32 v85, 0
	v_add_co_u32 v0, s0, s2, v86
	v_add_co_ci_u32_e64 v2, s0, s3, v87, s0
	v_lshlrev_b64 v[3:4], 4, v[84:85]
	s_mov_b32 s4, exec_lo
	v_add_co_u32 v28, s0, v0, v3
	v_add_co_ci_u32_e64 v29, s0, v2, v4, s0
	v_lshlrev_b32_e32 v3, 4, v84
	v_add_co_u32 v16, s0, 0x800, v28
	v_add_co_ci_u32_e64 v17, s0, 0, v29, s0
	v_add_co_u32 v24, s0, 0x1000, v28
	v_add_co_ci_u32_e64 v25, s0, 0, v29, s0
	;; [unrolled: 2-line block ×5, first 2 shown]
	s_clause 0xa
	global_load_dwordx4 v[4:7], v[28:29], off
	global_load_dwordx4 v[8:11], v[28:29], off offset:1088
	global_load_dwordx4 v[12:15], v[16:17], off offset:128
	;; [unrolled: 1-line block ×10, first 2 shown]
	v_add3_u32 v3, 0, v218, v3
	s_waitcnt vmcnt(10)
	ds_write_b128 v3, v[4:7]
	s_waitcnt vmcnt(9)
	ds_write_b128 v3, v[8:11] offset:1088
	s_waitcnt vmcnt(8)
	ds_write_b128 v3, v[12:15] offset:2176
	;; [unrolled: 2-line block ×10, first 2 shown]
	v_cmpx_eq_u32_e32 0x43, v84
	s_cbranch_execz .LBB0_11
; %bb.10:
	v_add_co_u32 v4, s0, 0x2800, v0
	v_add_co_ci_u32_e64 v5, s0, 0, v2, s0
	v_mov_b32_e32 v84, 0x43
	global_load_dwordx4 v[4:7], v[4:5], off offset:1728
	s_waitcnt vmcnt(0)
	ds_write_b128 v3, v[4:7] offset:10896
.LBB0_11:
	s_or_b32 exec_lo, exec_lo, s4
.LBB0_12:
	s_or_b32 exec_lo, exec_lo, s1
	v_lshl_add_u32 v216, v1, 4, 0
	v_lshlrev_b32_e32 v10, 4, v84
	s_waitcnt lgkmcnt(0)
	s_barrier
	buffer_gl0_inv
	s_add_u32 s1, s8, 0x2db0
	v_add_nc_u32_e32 v217, v216, v10
	v_sub_nc_u32_e32 v11, v216, v10
	s_addc_u32 s4, s9, 0
	s_mov_b32 s5, exec_lo
	ds_read_b64 v[6:7], v217
	ds_read_b64 v[8:9], v11 offset:11968
                                        ; implicit-def: $vgpr4_vgpr5
	s_waitcnt lgkmcnt(0)
	v_add_f64 v[0:1], v[6:7], v[8:9]
	v_add_f64 v[2:3], v[6:7], -v[8:9]
	v_cmpx_ne_u32_e32 0, v84
	s_xor_b32 s5, exec_lo, s5
	s_cbranch_execz .LBB0_14
; %bb.13:
	v_mov_b32_e32 v85, 0
	v_add_f64 v[14:15], v[6:7], v[8:9]
	v_add_f64 v[16:17], v[6:7], -v[8:9]
	v_lshlrev_b64 v[0:1], 4, v[84:85]
	v_add_co_u32 v0, s0, s1, v0
	v_add_co_ci_u32_e64 v1, s0, s4, v1, s0
	global_load_dwordx4 v[2:5], v[0:1], off
	ds_read_b64 v[0:1], v11 offset:11976
	ds_read_b64 v[12:13], v217 offset:8
	s_waitcnt lgkmcnt(0)
	v_add_f64 v[6:7], v[0:1], v[12:13]
	v_add_f64 v[0:1], v[12:13], -v[0:1]
	s_waitcnt vmcnt(0)
	v_fma_f64 v[8:9], v[16:17], v[4:5], v[14:15]
	v_fma_f64 v[12:13], -v[16:17], v[4:5], v[14:15]
	v_fma_f64 v[14:15], v[6:7], v[4:5], -v[0:1]
	v_fma_f64 v[4:5], v[6:7], v[4:5], v[0:1]
	v_fma_f64 v[0:1], -v[6:7], v[2:3], v[8:9]
	v_fma_f64 v[6:7], v[6:7], v[2:3], v[12:13]
	v_fma_f64 v[8:9], v[16:17], v[2:3], v[14:15]
	v_fma_f64 v[2:3], v[16:17], v[2:3], v[4:5]
	v_mov_b32_e32 v4, v84
	v_mov_b32_e32 v5, v85
	ds_write_b128 v11, v[6:9] offset:11968
.LBB0_14:
	s_andn2_saveexec_b32 s0, s5
	s_cbranch_execz .LBB0_16
; %bb.15:
	ds_read_b128 v[4:7], v216 offset:5984
	s_waitcnt lgkmcnt(0)
	v_add_f64 v[12:13], v[4:5], v[4:5]
	v_mul_f64 v[14:15], v[6:7], -2.0
	v_mov_b32_e32 v4, 0
	v_mov_b32_e32 v5, 0
	ds_write_b128 v216, v[12:15] offset:5984
.LBB0_16:
	s_or_b32 exec_lo, exec_lo, s0
	v_lshlrev_b64 v[4:5], 4, v[4:5]
	v_add_co_u32 v8, s0, s1, v4
	v_add_co_ci_u32_e64 v9, s0, s4, v5, s0
	s_mov_b32 s1, exec_lo
	v_add_co_u32 v16, s0, 0x800, v8
	global_load_dwordx4 v[4:7], v[8:9], off offset:1088
	v_add_co_ci_u32_e64 v17, s0, 0, v9, s0
	s_clause 0x1
	global_load_dwordx4 v[12:15], v[16:17], off offset:128
	global_load_dwordx4 v[16:19], v[16:17], off offset:1216
	ds_write_b128 v217, v[0:3]
	v_add_co_u32 v0, s0, 0x1000, v8
	v_add_co_ci_u32_e64 v1, s0, 0, v9, s0
	ds_read_b128 v[20:23], v217 offset:1088
	ds_read_b128 v[24:27], v11 offset:10880
	global_load_dwordx4 v[28:31], v[0:1], off offset:256
	s_waitcnt lgkmcnt(0)
	v_add_f64 v[2:3], v[20:21], v[24:25]
	v_add_f64 v[32:33], v[26:27], v[22:23]
	v_add_f64 v[20:21], v[20:21], -v[24:25]
	v_add_f64 v[8:9], v[22:23], -v[26:27]
	s_waitcnt vmcnt(3)
	v_fma_f64 v[22:23], v[20:21], v[6:7], v[2:3]
	v_fma_f64 v[24:25], v[32:33], v[6:7], v[8:9]
	v_fma_f64 v[2:3], -v[20:21], v[6:7], v[2:3]
	v_fma_f64 v[26:27], v[32:33], v[6:7], -v[8:9]
	v_fma_f64 v[6:7], -v[32:33], v[4:5], v[22:23]
	v_fma_f64 v[8:9], v[20:21], v[4:5], v[24:25]
	v_fma_f64 v[2:3], v[32:33], v[4:5], v[2:3]
	v_fma_f64 v[4:5], v[20:21], v[4:5], v[26:27]
	ds_write_b128 v217, v[6:9] offset:1088
	ds_write_b128 v11, v[2:5] offset:10880
	ds_read_b128 v[2:5], v217 offset:2176
	ds_read_b128 v[6:9], v11 offset:9792
	s_waitcnt lgkmcnt(0)
	v_add_f64 v[20:21], v[2:3], v[6:7]
	v_add_f64 v[22:23], v[8:9], v[4:5]
	v_add_f64 v[24:25], v[2:3], -v[6:7]
	v_add_f64 v[2:3], v[4:5], -v[8:9]
	s_waitcnt vmcnt(2)
	v_fma_f64 v[4:5], v[24:25], v[14:15], v[20:21]
	v_fma_f64 v[6:7], v[22:23], v[14:15], v[2:3]
	v_fma_f64 v[8:9], -v[24:25], v[14:15], v[20:21]
	v_fma_f64 v[14:15], v[22:23], v[14:15], -v[2:3]
	v_fma_f64 v[2:3], -v[22:23], v[12:13], v[4:5]
	v_fma_f64 v[4:5], v[24:25], v[12:13], v[6:7]
	v_fma_f64 v[6:7], v[22:23], v[12:13], v[8:9]
	v_fma_f64 v[8:9], v[24:25], v[12:13], v[14:15]
	ds_write_b128 v217, v[2:5] offset:2176
	ds_write_b128 v11, v[6:9] offset:9792
	ds_read_b128 v[2:5], v217 offset:3264
	ds_read_b128 v[6:9], v11 offset:8704
	;; [unrolled: 18-line block ×3, first 2 shown]
	s_waitcnt lgkmcnt(0)
	v_add_f64 v[12:13], v[2:3], v[6:7]
	v_add_f64 v[14:15], v[8:9], v[4:5]
	v_add_f64 v[16:17], v[2:3], -v[6:7]
	v_add_f64 v[2:3], v[4:5], -v[8:9]
	s_waitcnt vmcnt(0)
	v_fma_f64 v[4:5], v[16:17], v[30:31], v[12:13]
	v_fma_f64 v[6:7], v[14:15], v[30:31], v[2:3]
	v_fma_f64 v[8:9], -v[16:17], v[30:31], v[12:13]
	v_fma_f64 v[12:13], v[14:15], v[30:31], -v[2:3]
	v_fma_f64 v[2:3], -v[14:15], v[28:29], v[4:5]
	v_fma_f64 v[4:5], v[16:17], v[28:29], v[6:7]
	v_fma_f64 v[6:7], v[14:15], v[28:29], v[8:9]
	;; [unrolled: 1-line block ×3, first 2 shown]
	ds_write_b128 v217, v[2:5] offset:4352
	ds_write_b128 v11, v[6:9] offset:7616
	v_cmpx_gt_u32_e32 34, v84
	s_cbranch_execz .LBB0_18
; %bb.17:
	global_load_dwordx4 v[0:3], v[0:1], off offset:1344
	ds_read_b128 v[4:7], v217 offset:5440
	ds_read_b128 v[12:15], v11 offset:6528
	s_waitcnt lgkmcnt(0)
	v_add_f64 v[8:9], v[4:5], v[12:13]
	v_add_f64 v[16:17], v[14:15], v[6:7]
	v_add_f64 v[12:13], v[4:5], -v[12:13]
	v_add_f64 v[4:5], v[6:7], -v[14:15]
	s_waitcnt vmcnt(0)
	v_fma_f64 v[6:7], v[12:13], v[2:3], v[8:9]
	v_fma_f64 v[14:15], v[16:17], v[2:3], v[4:5]
	v_fma_f64 v[8:9], -v[12:13], v[2:3], v[8:9]
	v_fma_f64 v[18:19], v[16:17], v[2:3], -v[4:5]
	v_fma_f64 v[2:3], -v[16:17], v[0:1], v[6:7]
	v_fma_f64 v[4:5], v[12:13], v[0:1], v[14:15]
	v_fma_f64 v[6:7], v[16:17], v[0:1], v[8:9]
	;; [unrolled: 1-line block ×3, first 2 shown]
	ds_write_b128 v217, v[2:5] offset:5440
	ds_write_b128 v11, v[6:9] offset:6528
.LBB0_18:
	s_or_b32 exec_lo, exec_lo, s1
	v_add3_u32 v85, 0, v10, v218
	s_waitcnt lgkmcnt(0)
	s_barrier
	buffer_gl0_inv
	s_barrier
	buffer_gl0_inv
	ds_read_b128 v[16:19], v85 offset:11264
	ds_read_b128 v[28:31], v85 offset:704
	ds_read_b128 v[24:27], v85 offset:10560
	ds_read_b128 v[20:23], v217
	ds_read_b128 v[36:39], v85 offset:1408
	s_mov_b32 s12, 0x6c9a05f6
	s_mov_b32 s13, 0xbfe9895b
	ds_read_b128 v[52:55], v85 offset:2112
	ds_read_b128 v[32:35], v85 offset:9856
	s_mov_b32 s4, 0x6ed5f1bb
	s_mov_b32 s22, 0x923c349f
	;; [unrolled: 1-line block ×4, first 2 shown]
	ds_read_b128 v[40:43], v85 offset:9152
	ds_read_b128 v[72:75], v85 offset:2816
	s_mov_b32 s6, 0xc61f0d01
	s_mov_b32 s26, 0x5d8e7cdc
	;; [unrolled: 1-line block ×9, first 2 shown]
	s_waitcnt lgkmcnt(7)
	v_add_f64 v[110:111], v[30:31], -v[18:19]
	v_add_f64 v[118:119], v[30:31], v[18:19]
	v_add_f64 v[140:141], v[28:29], v[16:17]
	s_waitcnt lgkmcnt(4)
	v_add_f64 v[90:91], v[38:39], -v[26:27]
	v_add_f64 v[146:147], v[28:29], -v[16:17]
	v_add_f64 v[88:89], v[38:39], v[26:27]
	v_add_f64 v[92:93], v[36:37], v[24:25]
	s_waitcnt lgkmcnt(2)
	v_add_f64 v[112:113], v[54:55], -v[34:35]
	s_mov_b32 s15, 0xbfeb34fa
	s_mov_b32 s29, 0xbfe0d888
	;; [unrolled: 1-line block ×5, first 2 shown]
	v_add_f64 v[122:123], v[36:37], -v[24:25]
	v_add_f64 v[94:95], v[54:55], v[34:35]
	v_add_f64 v[96:97], v[52:53], v[32:33]
	s_waitcnt lgkmcnt(0)
	v_add_f64 v[116:117], v[74:75], -v[42:43]
	ds_read_b128 v[68:71], v85 offset:3520
	ds_read_b128 v[44:47], v85 offset:8448
	s_mov_b32 s10, 0x370991
	s_mov_b32 s30, 0x2b2883cd
	;; [unrolled: 1-line block ×4, first 2 shown]
	v_mul_f64 v[148:149], v[110:111], s[12:13]
	v_mul_f64 v[150:151], v[118:119], s[4:5]
	;; [unrolled: 1-line block ×9, first 2 shown]
	s_mov_b32 s31, 0x3fdc86fa
	s_mov_b32 s47, 0x3feca52d
	;; [unrolled: 1-line block ×4, first 2 shown]
	v_add_f64 v[128:129], v[52:53], -v[32:33]
	v_add_f64 v[100:101], v[72:73], v[40:41]
	v_mul_f64 v[162:163], v[94:95], s[10:11]
	v_mul_f64 v[168:169], v[90:91], s[46:47]
	v_mul_f64 v[170:171], v[88:89], s[30:31]
	s_waitcnt lgkmcnt(0)
	v_add_f64 v[124:125], v[70:71], -v[46:47]
	v_mul_f64 v[76:77], v[90:91], s[26:27]
	v_mul_f64 v[78:79], v[88:89], s[10:11]
	;; [unrolled: 1-line block ×3, first 2 shown]
	v_fma_f64 v[0:1], v[140:141], s[4:5], -v[148:149]
	v_fma_f64 v[2:3], v[146:147], s[12:13], v[150:151]
	v_fma_f64 v[12:13], v[140:141], s[14:15], -v[176:177]
	v_fma_f64 v[8:9], v[92:93], s[6:7], -v[156:157]
	v_fma_f64 v[14:15], v[146:147], s[28:29], v[178:179]
	v_fma_f64 v[10:11], v[122:123], s[22:23], v[158:159]
	;; [unrolled: 1-line block ×4, first 2 shown]
	v_fma_f64 v[106:107], v[96:97], s[10:11], -v[160:161]
	v_fma_f64 v[4:5], v[140:141], s[24:25], -v[4:5]
	v_fma_f64 v[6:7], v[146:147], s[40:41], v[6:7]
	v_add_f64 v[98:99], v[74:75], v[42:43]
	s_mov_b32 s16, 0x3259b75e
	s_mov_b32 s38, 0xeb564b22
	;; [unrolled: 1-line block ×6, first 2 shown]
	v_add_f64 v[102:103], v[68:69], v[44:45]
	v_mul_f64 v[180:181], v[112:113], s[38:39]
	v_mul_f64 v[182:183], v[94:95], s[16:17]
	v_fma_f64 v[108:109], v[122:123], s[46:47], v[170:171]
	v_add_f64 v[0:1], v[20:21], v[0:1]
	v_add_f64 v[2:3], v[22:23], v[2:3]
	;; [unrolled: 1-line block ×3, first 2 shown]
	v_mul_f64 v[172:173], v[124:125], s[34:35]
	v_add_f64 v[14:15], v[22:23], v[14:15]
	v_mul_f64 v[114:115], v[112:113], s[28:29]
	v_mul_f64 v[120:121], v[94:95], s[14:15]
	v_fma_f64 v[126:127], v[92:93], s[10:11], v[76:77]
	v_fma_f64 v[134:135], v[122:123], s[18:19], v[78:79]
	v_add_f64 v[80:81], v[20:21], v[80:81]
	v_add_f64 v[82:83], v[22:23], v[82:83]
	v_fma_f64 v[138:139], v[100:101], s[14:15], -v[164:165]
	v_fma_f64 v[76:77], v[92:93], s[10:11], -v[76:77]
	v_fma_f64 v[78:79], v[122:123], s[26:27], v[78:79]
	v_add_f64 v[4:5], v[20:21], v[4:5]
	v_add_f64 v[6:7], v[22:23], v[6:7]
	v_add_f64 v[130:131], v[72:73], -v[40:41]
	v_add_f64 v[104:105], v[70:71], v[46:47]
	v_mul_f64 v[166:167], v[98:99], s[14:15]
	s_mov_b32 s36, 0x2a9d6da3
	s_mov_b32 s20, 0x75d4884
	;; [unrolled: 1-line block ×3, first 2 shown]
	v_add_f64 v[0:1], v[8:9], v[0:1]
	v_fma_f64 v[8:9], v[128:129], s[18:19], v[162:163]
	v_add_f64 v[2:3], v[10:11], v[2:3]
	v_fma_f64 v[10:11], v[92:93], s[30:31], -v[168:169]
	s_mov_b32 s21, 0x3fe7a5f6
	s_mov_b32 s43, 0x3fe9895b
	;; [unrolled: 1-line block ×5, first 2 shown]
	v_mul_f64 v[188:189], v[116:117], s[42:43]
	v_mul_f64 v[190:191], v[98:99], s[4:5]
	v_fma_f64 v[144:145], v[128:129], s[38:39], v[182:183]
	v_mul_f64 v[152:153], v[98:99], s[20:21]
	v_fma_f64 v[154:155], v[96:97], s[14:15], v[114:115]
	v_fma_f64 v[192:193], v[128:129], s[48:49], v[120:121]
	v_add_f64 v[80:81], v[126:127], v[80:81]
	v_add_f64 v[82:83], v[134:135], v[82:83]
	v_fma_f64 v[126:127], v[102:103], s[16:17], -v[172:173]
	v_fma_f64 v[114:115], v[96:97], s[14:15], -v[114:115]
	v_fma_f64 v[120:121], v[128:129], s[28:29], v[120:121]
	v_add_f64 v[4:5], v[76:77], v[4:5]
	v_add_f64 v[6:7], v[78:79], v[6:7]
	;; [unrolled: 1-line block ×3, first 2 shown]
	v_add_f64 v[132:133], v[68:69], -v[44:45]
	v_add_f64 v[2:3], v[8:9], v[2:3]
	v_fma_f64 v[8:9], v[96:97], s[16:17], -v[180:181]
	v_add_f64 v[10:11], v[10:11], v[12:13]
	v_add_f64 v[12:13], v[108:109], v[14:15]
	v_mul_f64 v[14:15], v[116:117], s[36:37]
	v_mul_f64 v[174:175], v[104:105], s[16:17]
	v_fma_f64 v[142:143], v[130:131], s[28:29], v[166:167]
	ds_read_b128 v[64:67], v85 offset:4224
	ds_read_b128 v[60:63], v85 offset:4928
	;; [unrolled: 1-line block ×4, first 2 shown]
	s_mov_b32 s45, 0xbfe58eea
	s_mov_b32 s44, s36
	v_fma_f64 v[134:135], v[100:101], s[4:5], -v[188:189]
	v_fma_f64 v[194:195], v[130:131], s[42:43], v[190:191]
	v_mul_f64 v[196:197], v[124:125], s[18:19]
	v_mul_f64 v[200:201], v[104:105], s[10:11]
	v_add_f64 v[154:155], v[154:155], v[80:81]
	v_add_f64 v[192:193], v[192:193], v[82:83]
	v_mul_f64 v[198:199], v[124:125], s[12:13]
	v_mul_f64 v[202:203], v[104:105], s[4:5]
	v_add_f64 v[4:5], v[114:115], v[4:5]
	v_add_f64 v[6:7], v[120:121], v[6:7]
	;; [unrolled: 1-line block ×3, first 2 shown]
	s_mov_b32 s55, 0xbfeec746
	s_mov_b32 s54, s22
	s_mov_b32 s53, 0xbfeca52d
	v_add_f64 v[8:9], v[8:9], v[10:11]
	v_add_f64 v[10:11], v[144:145], v[12:13]
	s_waitcnt lgkmcnt(1)
	v_add_f64 v[136:137], v[66:67], -v[50:51]
	v_add_f64 v[106:107], v[66:67], v[50:51]
	v_fma_f64 v[12:13], v[100:101], s[20:21], v[14:15]
	v_fma_f64 v[144:145], v[130:131], s[44:45], v[152:153]
	v_fma_f64 v[14:15], v[100:101], s[20:21], -v[14:15]
	v_fma_f64 v[76:77], v[132:133], s[34:35], v[174:175]
	v_add_f64 v[2:3], v[142:143], v[2:3]
	v_add_f64 v[108:109], v[64:65], v[48:49]
	v_add_f64 v[142:143], v[64:65], -v[48:49]
	s_waitcnt lgkmcnt(0)
	v_add_f64 v[138:139], v[62:63], -v[58:59]
	v_add_f64 v[114:115], v[62:63], v[58:59]
	v_fma_f64 v[206:207], v[132:133], s[18:19], v[200:201]
	v_fma_f64 v[219:220], v[102:103], s[4:5], v[198:199]
	;; [unrolled: 1-line block ×3, first 2 shown]
	s_mov_b32 s52, s46
	v_add_f64 v[120:121], v[60:61], v[56:57]
	v_add_f64 v[0:1], v[126:127], v[0:1]
	v_fma_f64 v[126:127], v[130:131], s[36:37], v[152:153]
	v_add_f64 v[152:153], v[60:61], -v[56:57]
	s_mov_b32 s1, exec_lo
	v_add_f64 v[8:9], v[134:135], v[8:9]
	v_add_f64 v[10:11], v[194:195], v[10:11]
	v_mul_f64 v[184:185], v[136:137], s[44:45]
	v_mul_f64 v[186:187], v[106:107], s[20:21]
	v_fma_f64 v[134:135], v[102:103], s[10:11], -v[196:197]
	v_mul_f64 v[204:205], v[136:137], s[40:41]
	v_mul_f64 v[208:209], v[106:107], s[24:25]
	v_add_f64 v[12:13], v[12:13], v[154:155]
	v_add_f64 v[154:155], v[144:145], v[192:193]
	v_mul_f64 v[223:224], v[136:137], s[46:47]
	v_mul_f64 v[225:226], v[106:107], s[30:31]
	v_add_f64 v[4:5], v[14:15], v[4:5]
	v_fma_f64 v[14:15], v[102:103], s[4:5], -v[198:199]
	v_fma_f64 v[198:199], v[132:133], s[12:13], v[202:203]
	v_add_f64 v[2:3], v[76:77], v[2:3]
	ds_read_b128 v[80:83], v85 offset:5632
	ds_read_b128 v[76:79], v85 offset:6336
	v_mul_f64 v[192:193], v[138:139], s[40:41]
	v_mul_f64 v[194:195], v[114:115], s[24:25]
	;; [unrolled: 1-line block ×3, first 2 shown]
	v_add_f64 v[6:7], v[126:127], v[6:7]
	v_mul_f64 v[233:234], v[138:139], s[54:55]
	v_mul_f64 v[235:236], v[114:115], s[6:7]
	s_waitcnt lgkmcnt(0)
	v_add_f64 v[10:11], v[206:207], v[10:11]
	v_fma_f64 v[212:213], v[108:109], s[20:21], -v[184:185]
	v_fma_f64 v[214:215], v[142:143], s[44:45], v[186:187]
	v_add_f64 v[8:9], v[134:135], v[8:9]
	v_fma_f64 v[227:228], v[108:109], s[24:25], -v[204:205]
	v_fma_f64 v[229:230], v[142:143], s[40:41], v[208:209]
	v_mul_f64 v[206:207], v[138:139], s[36:37]
	v_add_f64 v[12:13], v[219:220], v[12:13]
	v_add_f64 v[219:220], v[221:222], v[154:155]
	v_fma_f64 v[221:222], v[108:109], s[30:31], v[223:224]
	v_fma_f64 v[231:232], v[142:143], s[52:53], v[225:226]
	v_add_f64 v[4:5], v[14:15], v[4:5]
	v_add_f64 v[144:145], v[82:83], -v[78:79]
	v_add_f64 v[126:127], v[82:83], v[78:79]
	v_fma_f64 v[14:15], v[108:109], s[30:31], -v[223:224]
	v_fma_f64 v[223:224], v[142:143], s[46:47], v[225:226]
	v_fma_f64 v[225:226], v[120:121], s[24:25], -v[192:193]
	v_fma_f64 v[237:238], v[152:153], s[40:41], v[194:195]
	v_add_f64 v[6:7], v[198:199], v[6:7]
	v_add_f64 v[134:135], v[80:81], v[76:77]
	v_add_f64 v[154:155], v[80:81], -v[76:77]
	s_barrier
	buffer_gl0_inv
	v_add_f64 v[0:1], v[212:213], v[0:1]
	v_add_f64 v[2:3], v[214:215], v[2:3]
	;; [unrolled: 1-line block ×4, first 2 shown]
	v_fma_f64 v[227:228], v[120:121], s[20:21], -v[206:207]
	v_fma_f64 v[229:230], v[152:153], s[36:37], v[210:211]
	v_add_f64 v[12:13], v[221:222], v[12:13]
	v_add_f64 v[219:220], v[231:232], v[219:220]
	v_fma_f64 v[221:222], v[120:121], s[6:7], v[233:234]
	v_mul_f64 v[198:199], v[144:145], s[46:47]
	v_mul_f64 v[202:203], v[126:127], s[30:31]
	v_mul_f64 v[212:213], v[144:145], s[54:55]
	v_mul_f64 v[214:215], v[126:127], s[6:7]
	v_fma_f64 v[231:232], v[152:153], s[22:23], v[235:236]
	v_mul_f64 v[239:240], v[144:145], s[34:35]
	v_mul_f64 v[241:242], v[126:127], s[16:17]
	v_add_f64 v[4:5], v[14:15], v[4:5]
	v_add_f64 v[6:7], v[223:224], v[6:7]
	v_fma_f64 v[14:15], v[120:121], s[6:7], -v[233:234]
	v_fma_f64 v[223:224], v[152:153], s[54:55], v[235:236]
	v_add_f64 v[0:1], v[225:226], v[0:1]
	v_add_f64 v[2:3], v[237:238], v[2:3]
	;; [unrolled: 1-line block ×5, first 2 shown]
	v_fma_f64 v[225:226], v[134:135], s[30:31], -v[198:199]
	v_fma_f64 v[233:234], v[154:155], s[46:47], v[202:203]
	v_fma_f64 v[227:228], v[134:135], s[6:7], -v[212:213]
	v_fma_f64 v[229:230], v[154:155], s[54:55], v[214:215]
	v_add_f64 v[219:220], v[231:232], v[219:220]
	v_fma_f64 v[231:232], v[134:135], s[16:17], v[239:240]
	v_fma_f64 v[235:236], v[154:155], s[38:39], v[241:242]
	;; [unrolled: 1-line block ×3, first 2 shown]
	v_add_f64 v[4:5], v[14:15], v[4:5]
	v_add_f64 v[6:7], v[223:224], v[6:7]
	v_fma_f64 v[223:224], v[134:135], s[16:17], -v[239:240]
	v_add_f64 v[12:13], v[225:226], v[0:1]
	v_add_f64 v[14:15], v[233:234], v[2:3]
	;; [unrolled: 1-line block ×8, first 2 shown]
	v_cmpx_gt_u32_e32 44, v84
	s_cbranch_execz .LBB0_20
; %bb.19:
	v_add_f64 v[28:29], v[20:21], v[28:29]
	v_add_f64 v[30:31], v[22:23], v[30:31]
	v_mul_f64 v[219:220], v[138:139], s[38:39]
	v_mul_f64 v[221:222], v[154:155], s[28:29]
	;; [unrolled: 1-line block ×16, first 2 shown]
	v_add_f64 v[28:29], v[28:29], v[36:37]
	v_add_f64 v[30:31], v[30:31], v[38:39]
	v_mul_f64 v[36:37], v[146:147], s[52:53]
	v_mul_f64 v[38:39], v[146:147], s[44:45]
	v_add_f64 v[28:29], v[28:29], v[52:53]
	v_add_f64 v[30:31], v[30:31], v[54:55]
	v_mul_f64 v[54:55], v[110:111], s[38:39]
	v_mul_f64 v[52:53], v[110:111], s[54:55]
	v_add_f64 v[28:29], v[28:29], v[72:73]
	v_add_f64 v[30:31], v[30:31], v[74:75]
	;; [unrolled: 1-line block ×6, first 2 shown]
	v_fma_f64 v[64:65], v[140:141], s[16:17], -v[54:55]
	v_fma_f64 v[54:55], v[140:141], s[16:17], v[54:55]
	v_add_f64 v[28:29], v[28:29], v[60:61]
	v_add_f64 v[30:31], v[30:31], v[62:63]
	v_mul_f64 v[60:61], v[110:111], s[18:19]
	v_fma_f64 v[62:63], v[140:141], s[6:7], -v[52:53]
	v_fma_f64 v[52:53], v[140:141], s[6:7], v[52:53]
	v_add_f64 v[64:65], v[20:21], v[64:65]
	v_add_f64 v[28:29], v[28:29], v[80:81]
	;; [unrolled: 1-line block ×3, first 2 shown]
	v_fma_f64 v[70:71], v[140:141], s[10:11], v[60:61]
	v_fma_f64 v[60:61], v[140:141], s[10:11], -v[60:61]
	v_add_f64 v[62:63], v[20:21], v[62:63]
	v_add_f64 v[52:53], v[20:21], v[52:53]
	;; [unrolled: 1-line block ×5, first 2 shown]
	v_mul_f64 v[60:61], v[100:101], s[4:5]
	v_add_f64 v[28:29], v[28:29], v[56:57]
	v_add_f64 v[30:31], v[30:31], v[58:59]
	v_mul_f64 v[58:59], v[110:111], s[44:45]
	v_mul_f64 v[56:57], v[110:111], s[52:53]
	v_add_f64 v[60:61], v[60:61], v[188:189]
	v_mul_f64 v[110:111], v[102:103], s[10:11]
	v_mul_f64 v[188:189], v[136:137], s[22:23]
	v_add_f64 v[28:29], v[28:29], v[48:49]
	v_add_f64 v[30:31], v[30:31], v[50:51]
	v_fma_f64 v[48:49], v[118:119], s[20:21], -v[38:39]
	v_fma_f64 v[38:39], v[118:119], s[20:21], v[38:39]
	v_fma_f64 v[68:69], v[140:141], s[20:21], v[58:59]
	v_fma_f64 v[66:67], v[140:141], s[30:31], -v[56:57]
	v_fma_f64 v[56:57], v[140:141], s[30:31], v[56:57]
	v_fma_f64 v[58:59], v[140:141], s[20:21], -v[58:59]
	v_add_f64 v[110:111], v[110:111], v[196:197]
	v_mul_f64 v[196:197], v[144:145], s[26:27]
	v_add_f64 v[28:29], v[28:29], v[44:45]
	v_add_f64 v[30:31], v[30:31], v[46:47]
	v_fma_f64 v[46:47], v[118:119], s[30:31], v[36:37]
	v_fma_f64 v[36:37], v[118:119], s[30:31], -v[36:37]
	v_add_f64 v[66:67], v[20:21], v[66:67]
	v_add_f64 v[28:29], v[28:29], v[40:41]
	;; [unrolled: 1-line block ×3, first 2 shown]
	v_mul_f64 v[40:41], v[146:147], s[18:19]
	v_add_f64 v[78:79], v[22:23], v[46:47]
	v_add_f64 v[36:37], v[22:23], v[36:37]
	;; [unrolled: 1-line block ×3, first 2 shown]
	v_mul_f64 v[56:57], v[96:97], s[16:17]
	v_add_f64 v[28:29], v[28:29], v[32:33]
	v_add_f64 v[30:31], v[30:31], v[34:35]
	v_mul_f64 v[32:33], v[146:147], s[54:55]
	v_mul_f64 v[34:35], v[146:147], s[38:39]
	v_fma_f64 v[50:51], v[118:119], s[10:11], -v[40:41]
	v_fma_f64 v[40:41], v[118:119], s[10:11], v[40:41]
	v_add_f64 v[56:57], v[56:57], v[180:181]
	v_mul_f64 v[180:181], v[116:117], s[40:41]
	v_add_f64 v[24:25], v[28:29], v[24:25]
	v_add_f64 v[26:27], v[30:31], v[26:27]
	v_mul_f64 v[28:29], v[146:147], s[12:13]
	v_fma_f64 v[42:43], v[118:119], s[6:7], -v[32:33]
	v_fma_f64 v[32:33], v[118:119], s[6:7], v[32:33]
	v_fma_f64 v[44:45], v[118:119], s[16:17], v[34:35]
	v_fma_f64 v[34:35], v[118:119], s[16:17], -v[34:35]
	v_add_f64 v[80:81], v[22:23], v[40:41]
	v_mul_f64 v[30:31], v[140:141], s[4:5]
	v_mul_f64 v[40:41], v[132:133], s[18:19]
	v_mul_f64 v[118:119], v[90:91], s[44:45]
	v_add_f64 v[16:17], v[24:25], v[16:17]
	v_mul_f64 v[24:25], v[146:147], s[28:29]
	v_add_f64 v[18:19], v[26:27], v[18:19]
	v_mul_f64 v[26:27], v[140:141], s[14:15]
	v_add_f64 v[28:29], v[150:151], -v[28:29]
	v_add_f64 v[72:73], v[22:23], v[42:43]
	v_add_f64 v[74:75], v[22:23], v[32:33]
	;; [unrolled: 1-line block ×8, first 2 shown]
	v_mul_f64 v[38:39], v[92:93], s[30:31]
	v_add_f64 v[44:45], v[20:21], v[54:55]
	v_mul_f64 v[54:55], v[128:129], s[38:39]
	v_add_f64 v[48:49], v[20:21], v[70:71]
	v_add_f64 v[70:71], v[20:21], v[58:59]
	v_mul_f64 v[58:59], v[130:131], s[42:43]
	v_add_f64 v[30:31], v[30:31], v[148:149]
	v_add_f64 v[40:41], v[200:201], -v[40:41]
	v_mul_f64 v[140:141], v[128:129], s[52:53]
	v_mul_f64 v[146:147], v[112:113], s[52:53]
	v_add_f64 v[24:25], v[178:179], -v[24:25]
	v_mul_f64 v[148:149], v[130:131], s[38:39]
	v_add_f64 v[26:27], v[26:27], v[176:177]
	v_add_f64 v[28:29], v[22:23], v[28:29]
	v_mul_f64 v[150:151], v[116:117], s[38:39]
	v_mul_f64 v[176:177], v[112:113], s[12:13]
	;; [unrolled: 1-line block ×5, first 2 shown]
	v_add_f64 v[38:39], v[38:39], v[168:169]
	v_mul_f64 v[168:169], v[154:155], s[40:41]
	v_add_f64 v[54:55], v[182:183], -v[54:55]
	v_mul_f64 v[182:183], v[132:133], s[48:49]
	v_add_f64 v[58:59], v[190:191], -v[58:59]
	v_add_f64 v[30:31], v[20:21], v[30:31]
	v_mul_f64 v[190:191], v[152:153], s[46:47]
	v_add_f64 v[24:25], v[22:23], v[24:25]
	v_mul_f64 v[22:23], v[122:123], s[46:47]
	;; [unrolled: 2-line block ×3, first 2 shown]
	v_add_f64 v[22:23], v[170:171], -v[22:23]
	v_mul_f64 v[170:171], v[144:145], s[40:41]
	v_add_f64 v[20:21], v[208:209], -v[20:21]
	v_mul_f64 v[208:209], v[124:125], s[36:37]
	v_add_f64 v[22:23], v[22:23], v[24:25]
	v_add_f64 v[24:25], v[38:39], v[26:27]
	v_mul_f64 v[26:27], v[108:109], s[24:25]
	v_mul_f64 v[38:39], v[152:153], s[36:37]
	v_add_f64 v[22:23], v[54:55], v[22:23]
	v_add_f64 v[24:25], v[56:57], v[24:25]
	;; [unrolled: 1-line block ×3, first 2 shown]
	v_mul_f64 v[54:55], v[120:121], s[20:21]
	v_add_f64 v[38:39], v[210:211], -v[38:39]
	v_mul_f64 v[56:57], v[100:101], s[14:15]
	v_mul_f64 v[204:205], v[116:117], s[22:23]
	;; [unrolled: 1-line block ×4, first 2 shown]
	v_add_f64 v[22:23], v[58:59], v[22:23]
	v_add_f64 v[24:25], v[60:61], v[24:25]
	v_mul_f64 v[58:59], v[132:133], s[34:35]
	v_add_f64 v[54:55], v[54:55], v[206:207]
	v_mul_f64 v[60:61], v[102:103], s[16:17]
	;; [unrolled: 2-line block ×3, first 2 shown]
	v_mul_f64 v[206:207], v[132:133], s[36:37]
	v_add_f64 v[22:23], v[40:41], v[22:23]
	v_add_f64 v[24:25], v[110:111], v[24:25]
	v_mul_f64 v[40:41], v[154:155], s[54:55]
	v_add_f64 v[58:59], v[174:175], -v[58:59]
	v_add_f64 v[60:61], v[60:61], v[172:173]
	v_mul_f64 v[110:111], v[142:143], s[44:45]
	v_mul_f64 v[172:173], v[90:91], s[38:39]
	;; [unrolled: 1-line block ×3, first 2 shown]
	v_add_f64 v[20:21], v[20:21], v[22:23]
	v_add_f64 v[22:23], v[26:27], v[24:25]
	v_mul_f64 v[24:25], v[134:135], s[6:7]
	v_add_f64 v[40:41], v[214:215], -v[40:41]
	v_mul_f64 v[214:215], v[152:153], s[38:39]
	v_add_f64 v[110:111], v[186:187], -v[110:111]
	v_mul_f64 v[186:187], v[142:143], s[22:23]
	v_add_f64 v[20:21], v[38:39], v[20:21]
	v_add_f64 v[26:27], v[54:55], v[22:23]
	;; [unrolled: 1-line block ×3, first 2 shown]
	v_mul_f64 v[38:39], v[128:129], s[18:19]
	v_mul_f64 v[54:55], v[130:131], s[28:29]
	;; [unrolled: 1-line block ×3, first 2 shown]
	v_add_f64 v[22:23], v[40:41], v[20:21]
	v_mul_f64 v[40:41], v[96:97], s[10:11]
	v_add_f64 v[20:21], v[24:25], v[26:27]
	v_mul_f64 v[24:25], v[122:123], s[22:23]
	v_mul_f64 v[26:27], v[92:93], s[6:7]
	v_add_f64 v[38:39], v[162:163], -v[38:39]
	v_add_f64 v[54:55], v[166:167], -v[54:55]
	v_mul_f64 v[162:163], v[136:137], s[12:13]
	v_mul_f64 v[166:167], v[138:139], s[28:29]
	v_add_f64 v[40:41], v[40:41], v[160:161]
	v_mul_f64 v[160:161], v[142:143], s[12:13]
	v_add_f64 v[24:25], v[158:159], -v[24:25]
	v_add_f64 v[26:27], v[26:27], v[156:157]
	v_mul_f64 v[156:157], v[132:133], s[54:55]
	v_mul_f64 v[158:159], v[124:125], s[54:55]
	v_add_f64 v[24:25], v[24:25], v[28:29]
	v_add_f64 v[26:27], v[26:27], v[30:31]
	v_mul_f64 v[28:29], v[108:109], s[20:21]
	v_mul_f64 v[30:31], v[152:153], s[40:41]
	v_add_f64 v[24:25], v[38:39], v[24:25]
	v_add_f64 v[26:27], v[40:41], v[26:27]
	v_add_f64 v[28:29], v[28:29], v[184:185]
	v_mul_f64 v[38:39], v[120:121], s[24:25]
	v_add_f64 v[30:31], v[194:195], -v[30:31]
	v_mul_f64 v[40:41], v[154:155], s[46:47]
	v_mul_f64 v[184:185], v[124:125], s[48:49]
	;; [unrolled: 1-line block ×4, first 2 shown]
	v_add_f64 v[24:25], v[54:55], v[24:25]
	v_add_f64 v[26:27], v[56:57], v[26:27]
	v_mul_f64 v[56:57], v[122:123], s[12:13]
	v_add_f64 v[38:39], v[38:39], v[192:193]
	v_mul_f64 v[192:193], v[138:139], s[46:47]
	v_add_f64 v[40:41], v[202:203], -v[40:41]
	v_mul_f64 v[202:203], v[130:131], s[22:23]
	v_mul_f64 v[54:55], v[122:123], s[40:41]
	v_add_f64 v[24:25], v[58:59], v[24:25]
	v_add_f64 v[26:27], v[60:61], v[26:27]
	v_mul_f64 v[60:61], v[122:123], s[38:39]
	v_mul_f64 v[58:59], v[90:91], s[12:13]
	;; [unrolled: 1-line block ×3, first 2 shown]
	v_add_f64 v[24:25], v[110:111], v[24:25]
	v_add_f64 v[26:27], v[28:29], v[26:27]
	v_mul_f64 v[28:29], v[134:135], s[30:31]
	v_mul_f64 v[110:111], v[122:123], s[44:45]
	v_add_f64 v[24:25], v[30:31], v[24:25]
	v_add_f64 v[30:31], v[38:39], v[26:27]
	;; [unrolled: 1-line block ×3, first 2 shown]
	v_fma_f64 v[38:39], v[94:95], s[4:5], -v[174:175]
	v_mul_f64 v[198:199], v[128:129], s[50:51]
	v_add_f64 v[26:27], v[40:41], v[24:25]
	v_add_f64 v[24:25], v[28:29], v[30:31]
	v_fma_f64 v[28:29], v[88:89], s[20:21], -v[110:111]
	v_fma_f64 v[30:31], v[92:93], s[20:21], v[118:119]
	v_fma_f64 v[40:41], v[94:95], s[24:25], -v[198:199]
	v_add_f64 v[28:29], v[28:29], v[34:35]
	v_fma_f64 v[34:35], v[94:95], s[30:31], -v[140:141]
	v_add_f64 v[30:31], v[30:31], v[48:49]
	v_mul_f64 v[48:49], v[122:123], s[48:49]
	v_mul_f64 v[122:123], v[132:133], s[40:41]
	v_add_f64 v[28:29], v[34:35], v[28:29]
	v_fma_f64 v[34:35], v[96:97], s[30:31], v[146:147]
	v_add_f64 v[30:31], v[34:35], v[30:31]
	v_fma_f64 v[34:35], v[98:99], s[16:17], -v[148:149]
	v_add_f64 v[28:29], v[34:35], v[28:29]
	v_fma_f64 v[34:35], v[100:101], s[16:17], v[150:151]
	v_add_f64 v[30:31], v[34:35], v[30:31]
	v_fma_f64 v[34:35], v[104:105], s[6:7], -v[156:157]
	;; [unrolled: 4-line block ×6, first 2 shown]
	v_fma_f64 v[60:61], v[88:89], s[16:17], v[60:61]
	v_add_f64 v[32:33], v[34:35], v[32:33]
	v_fma_f64 v[34:35], v[92:93], s[16:17], v[172:173]
	v_add_f64 v[60:61], v[60:61], v[68:69]
	;; [unrolled: 2-line block ×3, first 2 shown]
	v_add_f64 v[34:35], v[34:35], v[50:51]
	v_fma_f64 v[38:39], v[96:97], s[4:5], v[176:177]
	v_mul_f64 v[50:51], v[128:129], s[36:37]
	v_add_f64 v[34:35], v[38:39], v[34:35]
	v_fma_f64 v[38:39], v[98:99], s[24:25], -v[178:179]
	v_add_f64 v[32:33], v[38:39], v[32:33]
	v_fma_f64 v[38:39], v[100:101], s[24:25], v[180:181]
	v_add_f64 v[34:35], v[38:39], v[34:35]
	v_fma_f64 v[38:39], v[104:105], s[14:15], -v[182:183]
	v_add_f64 v[32:33], v[38:39], v[32:33]
	v_fma_f64 v[38:39], v[102:103], s[14:15], v[184:185]
	v_add_f64 v[34:35], v[38:39], v[34:35]
	v_fma_f64 v[38:39], v[106:107], s[6:7], -v[186:187]
	v_add_f64 v[32:33], v[38:39], v[32:33]
	v_fma_f64 v[38:39], v[108:109], s[6:7], v[188:189]
	v_add_f64 v[34:35], v[38:39], v[34:35]
	v_fma_f64 v[38:39], v[114:115], s[30:31], -v[190:191]
	v_add_f64 v[32:33], v[38:39], v[32:33]
	v_fma_f64 v[38:39], v[120:121], s[30:31], v[192:193]
	v_add_f64 v[38:39], v[38:39], v[34:35]
	v_fma_f64 v[34:35], v[126:127], s[10:11], -v[194:195]
	v_add_f64 v[34:35], v[34:35], v[32:33]
	v_fma_f64 v[32:33], v[134:135], s[10:11], v[196:197]
	v_add_f64 v[32:33], v[32:33], v[38:39]
	v_fma_f64 v[38:39], v[88:89], s[4:5], -v[56:57]
	v_fma_f64 v[56:57], v[88:89], s[4:5], v[56:57]
	v_add_f64 v[36:37], v[38:39], v[36:37]
	v_fma_f64 v[38:39], v[92:93], s[4:5], v[58:59]
	v_add_f64 v[56:57], v[56:57], v[78:79]
	v_fma_f64 v[58:59], v[92:93], s[4:5], -v[58:59]
	v_add_f64 v[36:37], v[40:41], v[36:37]
	v_add_f64 v[38:39], v[38:39], v[46:47]
	v_fma_f64 v[40:41], v[96:97], s[24:25], v[200:201]
	v_fma_f64 v[46:47], v[94:95], s[20:21], -v[50:51]
	v_fma_f64 v[50:51], v[94:95], s[20:21], v[50:51]
	v_add_f64 v[58:59], v[58:59], v[66:67]
	v_fma_f64 v[66:67], v[134:135], s[10:11], -v[196:197]
	v_add_f64 v[38:39], v[40:41], v[38:39]
	v_fma_f64 v[40:41], v[98:99], s[6:7], -v[202:203]
	v_add_f64 v[36:37], v[40:41], v[36:37]
	v_fma_f64 v[40:41], v[100:101], s[6:7], v[204:205]
	v_add_f64 v[38:39], v[40:41], v[38:39]
	v_fma_f64 v[40:41], v[104:105], s[20:21], -v[206:207]
	v_add_f64 v[36:37], v[40:41], v[36:37]
	v_fma_f64 v[40:41], v[102:103], s[20:21], v[208:209]
	;; [unrolled: 4-line block ×9, first 2 shown]
	v_add_f64 v[42:43], v[44:45], v[42:43]
	v_fma_f64 v[44:45], v[106:107], s[14:15], -v[239:240]
	v_add_f64 v[40:41], v[44:45], v[40:41]
	v_fma_f64 v[44:45], v[114:115], s[4:5], -v[241:242]
	v_add_f64 v[40:41], v[44:45], v[40:41]
	v_fma_f64 v[44:45], v[108:109], s[14:15], v[243:244]
	v_add_f64 v[42:43], v[44:45], v[42:43]
	v_fma_f64 v[44:45], v[120:121], s[4:5], v[245:246]
	v_add_f64 v[44:45], v[44:45], v[42:43]
	v_fma_f64 v[42:43], v[126:127], s[20:21], -v[247:248]
	v_add_f64 v[42:43], v[42:43], v[40:41]
	v_fma_f64 v[40:41], v[134:135], s[20:21], v[249:250]
	v_add_f64 v[40:41], v[40:41], v[44:45]
	v_fma_f64 v[44:45], v[88:89], s[14:15], -v[48:49]
	v_fma_f64 v[48:49], v[88:89], s[14:15], v[48:49]
	v_add_f64 v[44:45], v[44:45], v[72:73]
	v_mul_f64 v[72:73], v[130:131], s[52:53]
	v_add_f64 v[48:49], v[48:49], v[74:75]
	v_fma_f64 v[74:75], v[92:93], s[14:15], -v[90:91]
	v_add_f64 v[44:45], v[46:47], v[44:45]
	v_fma_f64 v[46:47], v[98:99], s[30:31], -v[72:73]
	v_add_f64 v[48:49], v[50:51], v[48:49]
	v_add_f64 v[62:63], v[74:75], v[62:63]
	v_fma_f64 v[50:51], v[96:97], s[20:21], -v[112:113]
	v_add_f64 v[44:45], v[46:47], v[44:45]
	v_fma_f64 v[46:47], v[104:105], s[24:25], -v[122:123]
	v_add_f64 v[50:51], v[50:51], v[62:63]
	v_fma_f64 v[62:63], v[98:99], s[30:31], v[72:73]
	v_fma_f64 v[72:73], v[98:99], s[16:17], v[148:149]
	v_add_f64 v[44:45], v[46:47], v[44:45]
	v_fma_f64 v[46:47], v[92:93], s[14:15], v[90:91]
	v_add_f64 v[48:49], v[62:63], v[48:49]
	v_fma_f64 v[62:63], v[100:101], s[30:31], -v[116:117]
	v_add_f64 v[46:47], v[46:47], v[52:53]
	v_mul_f64 v[52:53], v[142:143], s[34:35]
	v_mul_f64 v[142:143], v[144:145], s[12:13]
	v_add_f64 v[50:51], v[62:63], v[50:51]
	v_fma_f64 v[62:63], v[104:105], s[24:25], v[122:123]
	v_fma_f64 v[128:129], v[106:107], s[16:17], -v[52:53]
	v_fma_f64 v[52:53], v[106:107], s[16:17], v[52:53]
	v_add_f64 v[48:49], v[62:63], v[48:49]
	v_fma_f64 v[62:63], v[102:103], s[24:25], -v[124:125]
	v_add_f64 v[44:45], v[128:129], v[44:45]
	v_fma_f64 v[128:129], v[96:97], s[20:21], v[112:113]
	v_add_f64 v[48:49], v[52:53], v[48:49]
	v_add_f64 v[50:51], v[62:63], v[50:51]
	v_fma_f64 v[62:63], v[134:135], s[4:5], -v[142:143]
	v_add_f64 v[46:47], v[128:129], v[46:47]
	v_mul_f64 v[128:129], v[152:153], s[18:19]
	v_fma_f64 v[130:131], v[114:115], s[10:11], -v[128:129]
	v_add_f64 v[44:45], v[130:131], v[44:45]
	v_fma_f64 v[130:131], v[100:101], s[30:31], v[116:117]
	v_add_f64 v[46:47], v[130:131], v[46:47]
	v_fma_f64 v[130:131], v[102:103], s[24:25], v[124:125]
	v_add_f64 v[46:47], v[130:131], v[46:47]
	v_mul_f64 v[130:131], v[136:137], s[34:35]
	v_fma_f64 v[132:133], v[108:109], s[16:17], v[130:131]
	v_fma_f64 v[52:53], v[108:109], s[16:17], -v[130:131]
	v_add_f64 v[46:47], v[132:133], v[46:47]
	v_mul_f64 v[132:133], v[138:139], s[18:19]
	v_add_f64 v[50:51], v[52:53], v[50:51]
	v_fma_f64 v[52:53], v[114:115], s[10:11], v[128:129]
	v_mul_f64 v[138:139], v[154:155], s[12:13]
	v_fma_f64 v[136:137], v[120:121], s[10:11], v[132:133]
	v_add_f64 v[48:49], v[52:53], v[48:49]
	v_fma_f64 v[52:53], v[120:121], s[10:11], -v[132:133]
	v_add_f64 v[136:137], v[136:137], v[46:47]
	v_fma_f64 v[46:47], v[126:127], s[4:5], -v[138:139]
	v_add_f64 v[52:53], v[52:53], v[50:51]
	v_fma_f64 v[50:51], v[126:127], s[4:5], v[138:139]
	v_add_f64 v[46:47], v[46:47], v[44:45]
	v_fma_f64 v[44:45], v[134:135], s[4:5], v[142:143]
	v_add_f64 v[50:51], v[50:51], v[48:49]
	v_add_f64 v[48:49], v[62:63], v[52:53]
	v_fma_f64 v[52:53], v[88:89], s[24:25], v[54:55]
	v_fma_f64 v[54:55], v[92:93], s[24:25], -v[225:226]
	v_fma_f64 v[62:63], v[94:95], s[6:7], v[227:228]
	v_add_f64 v[44:45], v[44:45], v[136:137]
	v_add_f64 v[52:53], v[52:53], v[76:77]
	;; [unrolled: 1-line block ×3, first 2 shown]
	v_fma_f64 v[64:65], v[134:135], s[20:21], -v[249:250]
	v_add_f64 v[52:53], v[62:63], v[52:53]
	v_fma_f64 v[62:63], v[96:97], s[6:7], -v[229:230]
	v_add_f64 v[54:55], v[62:63], v[54:55]
	v_fma_f64 v[62:63], v[98:99], s[10:11], v[231:232]
	v_add_f64 v[52:53], v[62:63], v[52:53]
	v_fma_f64 v[62:63], v[100:101], s[10:11], -v[233:234]
	v_add_f64 v[54:55], v[62:63], v[54:55]
	v_fma_f64 v[62:63], v[104:105], s[30:31], v[235:236]
	;; [unrolled: 4-line block ×5, first 2 shown]
	v_add_f64 v[54:55], v[54:55], v[52:53]
	v_add_f64 v[52:53], v[64:65], v[62:63]
	v_fma_f64 v[62:63], v[94:95], s[24:25], v[198:199]
	v_fma_f64 v[64:65], v[134:135], s[14:15], -v[223:224]
	v_add_f64 v[56:57], v[62:63], v[56:57]
	v_fma_f64 v[62:63], v[96:97], s[24:25], -v[200:201]
	v_add_f64 v[58:59], v[62:63], v[58:59]
	v_fma_f64 v[62:63], v[98:99], s[6:7], v[202:203]
	v_add_f64 v[56:57], v[62:63], v[56:57]
	v_fma_f64 v[62:63], v[100:101], s[6:7], -v[204:205]
	v_add_f64 v[58:59], v[62:63], v[58:59]
	v_fma_f64 v[62:63], v[104:105], s[20:21], v[206:207]
	;; [unrolled: 4-line block ×5, first 2 shown]
	v_add_f64 v[58:59], v[58:59], v[56:57]
	v_add_f64 v[56:57], v[64:65], v[62:63]
	v_fma_f64 v[62:63], v[92:93], s[16:17], -v[172:173]
	v_fma_f64 v[64:65], v[94:95], s[4:5], v[174:175]
	v_add_f64 v[62:63], v[62:63], v[70:71]
	v_add_f64 v[60:61], v[64:65], v[60:61]
	v_fma_f64 v[64:65], v[96:97], s[4:5], -v[176:177]
	v_fma_f64 v[70:71], v[96:97], s[30:31], -v[146:147]
	v_add_f64 v[62:63], v[64:65], v[62:63]
	v_fma_f64 v[64:65], v[98:99], s[24:25], v[178:179]
	v_add_f64 v[60:61], v[64:65], v[60:61]
	v_fma_f64 v[64:65], v[100:101], s[24:25], -v[180:181]
	v_add_f64 v[62:63], v[64:65], v[62:63]
	v_fma_f64 v[64:65], v[104:105], s[14:15], v[182:183]
	v_add_f64 v[60:61], v[64:65], v[60:61]
	;; [unrolled: 4-line block ×5, first 2 shown]
	v_add_f64 v[60:61], v[66:67], v[64:65]
	v_fma_f64 v[64:65], v[88:89], s[20:21], v[110:111]
	v_fma_f64 v[66:67], v[92:93], s[20:21], -v[118:119]
	v_add_f64 v[64:65], v[64:65], v[80:81]
	v_add_f64 v[66:67], v[66:67], v[82:83]
	;; [unrolled: 1-line block ×3, first 2 shown]
	v_fma_f64 v[68:69], v[100:101], s[16:17], -v[150:151]
	v_add_f64 v[66:67], v[70:71], v[66:67]
	v_fma_f64 v[70:71], v[104:105], s[6:7], v[156:157]
	v_add_f64 v[64:65], v[72:73], v[64:65]
	v_fma_f64 v[72:73], v[102:103], s[6:7], -v[158:159]
	v_add_f64 v[66:67], v[68:69], v[66:67]
	v_fma_f64 v[68:69], v[106:107], s[4:5], v[160:161]
	v_add_f64 v[64:65], v[70:71], v[64:65]
	;; [unrolled: 4-line block ×4, first 2 shown]
	v_fma_f64 v[72:73], v[134:135], s[24:25], -v[170:171]
	v_add_f64 v[68:69], v[68:69], v[66:67]
	v_add_f64 v[66:67], v[70:71], v[64:65]
	;; [unrolled: 1-line block ×3, first 2 shown]
	v_mul_u32_u24_e32 v68, 0x110, v84
	v_add3_u32 v68, 0, v68, v218
	ds_write_b128 v68, v[16:19]
	ds_write_b128 v68, v[28:31] offset:16
	ds_write_b128 v68, v[32:35] offset:32
	;; [unrolled: 1-line block ×16, first 2 shown]
.LBB0_20:
	s_or_b32 exec_lo, exec_lo, s1
	s_waitcnt lgkmcnt(0)
	s_barrier
	buffer_gl0_inv
	ds_read_b128 v[16:19], v217
	ds_read_b128 v[20:23], v85 offset:1088
	ds_read_b128 v[36:39], v85 offset:2992
	;; [unrolled: 1-line block ×7, first 2 shown]
	v_cmp_gt_u32_e64 s0, 51, v84
	s_and_saveexec_b32 s1, s0
	s_cbranch_execz .LBB0_22
; %bb.21:
	ds_read_b128 v[0:3], v85 offset:2176
	ds_read_b128 v[4:7], v85 offset:5168
	;; [unrolled: 1-line block ×4, first 2 shown]
.LBB0_22:
	s_or_b32 exec_lo, exec_lo, s1
	v_and_b32_e32 v48, 0xff, v84
	v_add_nc_u16 v49, v84, 0x44
	v_mul_lo_u16 v48, 0xf1, v48
	v_and_b32_e32 v50, 0xff, v49
	v_lshrrev_b16 v83, 12, v48
	v_mul_lo_u16 v48, 0xf1, v50
	v_mul_lo_u16 v50, v83, 17
	v_lshrrev_b16 v90, 12, v48
	v_mov_b32_e32 v48, 3
	v_sub_nc_u16 v91, v84, v50
	v_mul_lo_u16 v50, v90, 17
	v_mul_u32_u24_sdwa v51, v91, v48 dst_sel:DWORD dst_unused:UNUSED_PAD src0_sel:BYTE_0 src1_sel:DWORD
	v_sub_nc_u16 v92, v49, v50
	v_lshlrev_b32_e32 v57, 4, v51
	v_mul_u32_u24_sdwa v53, v92, v48 dst_sel:DWORD dst_unused:UNUSED_PAD src0_sel:BYTE_0 src1_sel:DWORD
	global_load_dwordx4 v[49:52], v57, s[8:9]
	v_lshlrev_b32_e32 v69, 4, v53
	s_clause 0x4
	global_load_dwordx4 v[53:56], v57, s[8:9] offset:16
	global_load_dwordx4 v[57:60], v57, s[8:9] offset:32
	global_load_dwordx4 v[61:64], v69, s[8:9]
	global_load_dwordx4 v[65:68], v69, s[8:9] offset:16
	global_load_dwordx4 v[69:72], v69, s[8:9] offset:32
	s_waitcnt vmcnt(0) lgkmcnt(0)
	s_barrier
	buffer_gl0_inv
	v_mul_f64 v[75:76], v[42:43], v[55:56]
	v_mul_f64 v[73:74], v[38:39], v[51:52]
	v_mul_f64 v[51:52], v[36:37], v[51:52]
	v_mul_f64 v[55:56], v[40:41], v[55:56]
	v_mul_f64 v[77:78], v[46:47], v[59:60]
	v_mul_f64 v[59:60], v[44:45], v[59:60]
	v_mul_f64 v[79:80], v[26:27], v[63:64]
	v_mul_f64 v[63:64], v[24:25], v[63:64]
	v_mul_f64 v[81:82], v[30:31], v[67:68]
	v_mul_f64 v[67:68], v[28:29], v[67:68]
	v_mul_f64 v[88:89], v[34:35], v[71:72]
	v_mul_f64 v[71:72], v[32:33], v[71:72]
	v_fma_f64 v[40:41], v[40:41], v[53:54], v[75:76]
	v_fma_f64 v[36:37], v[36:37], v[49:50], v[73:74]
	v_fma_f64 v[38:39], v[38:39], v[49:50], -v[51:52]
	v_fma_f64 v[42:43], v[42:43], v[53:54], -v[55:56]
	v_fma_f64 v[44:45], v[44:45], v[57:58], v[77:78]
	v_fma_f64 v[46:47], v[46:47], v[57:58], -v[59:60]
	v_fma_f64 v[24:25], v[24:25], v[61:62], v[79:80]
	;; [unrolled: 2-line block ×4, first 2 shown]
	v_fma_f64 v[34:35], v[34:35], v[69:70], -v[71:72]
	v_add_f64 v[40:41], v[16:17], -v[40:41]
	v_add_f64 v[42:43], v[18:19], -v[42:43]
	;; [unrolled: 1-line block ×8, first 2 shown]
	v_fma_f64 v[53:54], v[16:17], 2.0, -v[40:41]
	v_mov_b32_e32 v16, 4
	v_fma_f64 v[55:56], v[18:19], 2.0, -v[42:43]
	v_fma_f64 v[33:34], v[36:37], 2.0, -v[44:45]
	;; [unrolled: 1-line block ×3, first 2 shown]
	v_add_f64 v[17:18], v[40:41], v[46:47]
	v_and_b32_e32 v46, 0xffff, v90
	v_fma_f64 v[57:58], v[20:21], 2.0, -v[49:50]
	v_fma_f64 v[59:60], v[22:23], 2.0, -v[51:52]
	;; [unrolled: 1-line block ×4, first 2 shown]
	v_add_f64 v[19:20], v[42:43], -v[44:45]
	v_add_f64 v[21:22], v[49:50], v[31:32]
	v_add_f64 v[23:24], v[51:52], -v[29:30]
	v_and_b32_e32 v45, 0xffff, v83
	v_lshlrev_b32_sdwa v47, v16, v91 dst_sel:DWORD dst_unused:UNUSED_PAD src0_sel:DWORD src1_sel:BYTE_0
	v_mad_u32_u24 v46, 0x440, v46, 0
	v_mad_u32_u24 v45, 0x440, v45, 0
	v_add3_u32 v45, v45, v47, v218
	v_add_f64 v[25:26], v[53:54], -v[33:34]
	v_add_f64 v[27:28], v[55:56], -v[35:36]
	v_fma_f64 v[33:34], v[40:41], 2.0, -v[17:18]
	v_add_f64 v[29:30], v[57:58], -v[37:38]
	v_add_f64 v[31:32], v[59:60], -v[61:62]
	v_fma_f64 v[35:36], v[42:43], 2.0, -v[19:20]
	v_fma_f64 v[37:38], v[49:50], 2.0, -v[21:22]
	;; [unrolled: 1-line block ×5, first 2 shown]
	v_lshlrev_b32_sdwa v53, v16, v92 dst_sel:DWORD dst_unused:UNUSED_PAD src0_sel:DWORD src1_sel:BYTE_0
	v_fma_f64 v[49:50], v[57:58], 2.0, -v[29:30]
	v_fma_f64 v[51:52], v[59:60], 2.0, -v[31:32]
	v_add3_u32 v46, v46, v53, v218
	ds_write_b128 v45, v[17:20] offset:816
	ds_write_b128 v45, v[33:36] offset:272
	;; [unrolled: 1-line block ×3, first 2 shown]
	ds_write_b128 v45, v[41:44]
	ds_write_b128 v46, v[37:40] offset:272
	ds_write_b128 v46, v[29:32] offset:544
	ds_write_b128 v46, v[49:52]
	ds_write_b128 v46, v[21:24] offset:816
	s_and_saveexec_b32 s1, s0
	s_cbranch_execz .LBB0_24
; %bb.23:
	v_add_nc_u16 v17, v84, 0x88
	v_and_b32_e32 v18, 0xff, v17
	v_mul_lo_u16 v18, 0xf1, v18
	v_lshrrev_b16 v35, 12, v18
	v_mul_lo_u16 v18, v35, 17
	v_sub_nc_u16 v36, v17, v18
	v_mul_u32_u24_sdwa v17, v36, v48 dst_sel:DWORD dst_unused:UNUSED_PAD src0_sel:BYTE_0 src1_sel:DWORD
	v_lshlrev_b32_sdwa v16, v16, v36 dst_sel:DWORD dst_unused:UNUSED_PAD src0_sel:DWORD src1_sel:BYTE_0
	v_lshlrev_b32_e32 v25, 4, v17
	s_clause 0x2
	global_load_dwordx4 v[17:20], v25, s[8:9] offset:16
	global_load_dwordx4 v[21:24], v25, s[8:9]
	global_load_dwordx4 v[25:28], v25, s[8:9] offset:32
	s_waitcnt vmcnt(2)
	v_mul_f64 v[29:30], v[8:9], v[19:20]
	s_waitcnt vmcnt(1)
	v_mul_f64 v[31:32], v[6:7], v[23:24]
	v_mul_f64 v[23:24], v[4:5], v[23:24]
	s_waitcnt vmcnt(0)
	v_mul_f64 v[33:34], v[12:13], v[27:28]
	v_mul_f64 v[19:20], v[10:11], v[19:20]
	;; [unrolled: 1-line block ×3, first 2 shown]
	v_fma_f64 v[10:11], v[10:11], v[17:18], -v[29:30]
	v_fma_f64 v[4:5], v[4:5], v[21:22], v[31:32]
	v_fma_f64 v[6:7], v[6:7], v[21:22], -v[23:24]
	v_fma_f64 v[14:15], v[14:15], v[25:26], -v[33:34]
	v_fma_f64 v[8:9], v[8:9], v[17:18], v[19:20]
	v_fma_f64 v[12:13], v[12:13], v[25:26], v[27:28]
	v_add_f64 v[10:11], v[2:3], -v[10:11]
	v_add_f64 v[14:15], v[6:7], -v[14:15]
	;; [unrolled: 1-line block ×4, first 2 shown]
	v_fma_f64 v[17:18], v[2:3], 2.0, -v[10:11]
	v_fma_f64 v[6:7], v[6:7], 2.0, -v[14:15]
	;; [unrolled: 1-line block ×4, first 2 shown]
	v_add_f64 v[2:3], v[10:11], -v[12:13]
	v_add_f64 v[0:1], v[8:9], v[14:15]
	v_add_f64 v[6:7], v[17:18], -v[6:7]
	v_add_f64 v[4:5], v[19:20], -v[4:5]
	v_fma_f64 v[10:11], v[10:11], 2.0, -v[2:3]
	v_fma_f64 v[8:9], v[8:9], 2.0, -v[0:1]
	;; [unrolled: 1-line block ×3, first 2 shown]
	v_and_b32_e32 v17, 0xffff, v35
	v_fma_f64 v[12:13], v[19:20], 2.0, -v[4:5]
	v_mad_u32_u24 v17, 0x440, v17, 0
	v_add3_u32 v16, v17, v16, v218
	ds_write_b128 v16, v[8:11] offset:272
	ds_write_b128 v16, v[4:7] offset:544
	ds_write_b128 v16, v[12:15]
	ds_write_b128 v16, v[0:3] offset:816
.LBB0_24:
	s_or_b32 exec_lo, exec_lo, s1
	v_mul_u32_u24_e32 v0, 10, v84
	s_waitcnt lgkmcnt(0)
	s_barrier
	buffer_gl0_inv
	s_mov_b32 s0, 0xf8bb580b
	v_lshlrev_b32_e32 v0, 4, v0
	s_mov_b32 s4, 0x8764f0ba
	s_mov_b32 s1, 0xbfe14ced
	;; [unrolled: 1-line block ×4, first 2 shown]
	s_clause 0x9
	global_load_dwordx4 v[4:7], v0, s[8:9] offset:816
	global_load_dwordx4 v[8:11], v0, s[8:9] offset:960
	global_load_dwordx4 v[12:15], v0, s[8:9] offset:832
	global_load_dwordx4 v[16:19], v0, s[8:9] offset:944
	global_load_dwordx4 v[20:23], v0, s[8:9] offset:848
	global_load_dwordx4 v[24:27], v0, s[8:9] offset:928
	global_load_dwordx4 v[28:31], v0, s[8:9] offset:864
	global_load_dwordx4 v[32:35], v0, s[8:9] offset:912
	global_load_dwordx4 v[36:39], v0, s[8:9] offset:880
	global_load_dwordx4 v[40:43], v0, s[8:9] offset:896
	ds_read_b128 v[0:3], v217
	ds_read_b128 v[44:47], v85 offset:1088
	ds_read_b128 v[48:51], v85 offset:2176
	;; [unrolled: 1-line block ×10, first 2 shown]
	s_mov_b32 s8, 0x8eee2c13
	s_mov_b32 s9, 0xbfed1bb4
	s_mov_b32 s11, 0x3fda9628
	s_mov_b32 s12, 0x43842ef
	s_mov_b32 s16, 0x640f44db
	s_mov_b32 s13, 0xbfefac9e
	s_mov_b32 s17, 0xbfc2375f
	s_mov_b32 s20, 0xbb3a28a1
	s_mov_b32 s22, 0x7f775887
	s_mov_b32 s21, 0xbfe82f19
	s_mov_b32 s23, 0xbfe4f49e
	s_mov_b32 s26, 0xfd768dbf
	s_mov_b32 s28, 0x9bcd5057
	s_mov_b32 s27, 0xbfd207e7
	s_mov_b32 s29, 0xbfeeb42a
	s_mov_b32 s7, 0x3fe14ced
	s_mov_b32 s6, s0
	s_mov_b32 s15, 0x3fed1bb4
	s_mov_b32 s14, s8
	s_mov_b32 s19, 0x3fefac9e
	s_mov_b32 s31, 0x3fd207e7
	s_mov_b32 s18, s12
	s_mov_b32 s30, s26
	s_mov_b32 s25, 0x3fe82f19
	s_mov_b32 s24, s20
	s_waitcnt vmcnt(0) lgkmcnt(0)
	s_barrier
	buffer_gl0_inv
	v_mul_f64 v[88:89], v[46:47], v[6:7]
	v_mul_f64 v[6:7], v[44:45], v[6:7]
	;; [unrolled: 1-line block ×20, first 2 shown]
	v_fma_f64 v[44:45], v[44:45], v[4:5], v[88:89]
	v_fma_f64 v[46:47], v[46:47], v[4:5], -v[6:7]
	v_fma_f64 v[4:5], v[82:83], v[8:9], -v[90:91]
	v_fma_f64 v[48:49], v[48:49], v[12:13], v[92:93]
	v_fma_f64 v[6:7], v[80:81], v[8:9], v[10:11]
	v_fma_f64 v[12:13], v[50:51], v[12:13], -v[14:15]
	v_fma_f64 v[8:9], v[76:77], v[16:17], v[94:95]
	v_fma_f64 v[10:11], v[78:79], v[16:17], -v[18:19]
	;; [unrolled: 2-line block ×8, first 2 shown]
	v_add_f64 v[38:39], v[0:1], v[44:45]
	v_add_f64 v[40:41], v[2:3], v[46:47]
	v_add_f64 v[42:43], v[46:47], -v[4:5]
	v_add_f64 v[46:47], v[46:47], v[4:5]
	v_add_f64 v[50:51], v[44:45], v[6:7]
	v_add_f64 v[44:45], v[44:45], -v[6:7]
	;; [unrolled: 3-line block ×3, first 2 shown]
	v_add_f64 v[56:57], v[48:49], -v[8:9]
	v_add_f64 v[60:61], v[14:15], v[18:19]
	v_add_f64 v[64:65], v[14:15], -v[18:19]
	v_add_f64 v[62:63], v[16:17], v[20:21]
	;; [unrolled: 2-line block ×3, first 2 shown]
	v_add_f64 v[70:71], v[24:25], v[28:29]
	v_add_f64 v[74:75], v[24:25], -v[28:29]
	v_add_f64 v[72:73], v[22:23], -v[26:27]
	v_add_f64 v[76:77], v[30:31], v[34:35]
	v_add_f64 v[78:79], v[32:33], v[36:37]
	v_add_f64 v[82:83], v[32:33], -v[36:37]
	v_add_f64 v[80:81], v[30:31], -v[34:35]
	v_add_f64 v[38:39], v[38:39], v[48:49]
	v_add_f64 v[12:13], v[40:41], v[12:13]
	v_mul_f64 v[40:41], v[42:43], s[0:1]
	v_mul_f64 v[48:49], v[46:47], s[4:5]
	v_mul_f64 v[88:89], v[42:43], s[8:9]
	v_mul_f64 v[90:91], v[46:47], s[10:11]
	v_mul_f64 v[92:93], v[42:43], s[12:13]
	v_mul_f64 v[94:95], v[46:47], s[16:17]
	v_mul_f64 v[96:97], v[42:43], s[20:21]
	v_mul_f64 v[98:99], v[46:47], s[22:23]
	v_mul_f64 v[42:43], v[42:43], s[26:27]
	v_mul_f64 v[46:47], v[46:47], s[28:29]
	v_mul_f64 v[100:101], v[58:59], s[8:9]
	v_mul_f64 v[102:103], v[54:55], s[10:11]
	v_mul_f64 v[104:105], v[58:59], s[20:21]
	v_mul_f64 v[106:107], v[54:55], s[22:23]
	v_mul_f64 v[108:109], v[58:59], s[30:31]
	v_mul_f64 v[110:111], v[54:55], s[28:29]
	v_mul_f64 v[112:113], v[58:59], s[18:19]
	v_mul_f64 v[114:115], v[54:55], s[16:17]
	v_mul_f64 v[58:59], v[58:59], s[6:7]
	v_mul_f64 v[54:55], v[54:55], s[4:5]
	v_add_f64 v[14:15], v[38:39], v[14:15]
	v_add_f64 v[12:13], v[12:13], v[16:17]
	v_fma_f64 v[16:17], v[50:51], s[4:5], v[40:41]
	v_fma_f64 v[38:39], v[44:45], s[6:7], v[48:49]
	v_fma_f64 v[40:41], v[50:51], s[4:5], -v[40:41]
	v_fma_f64 v[48:49], v[44:45], s[0:1], v[48:49]
	v_fma_f64 v[164:165], v[50:51], s[10:11], v[88:89]
	;; [unrolled: 1-line block ×3, first 2 shown]
	v_mul_f64 v[116:117], v[66:67], s[12:13]
	v_mul_f64 v[118:119], v[62:63], s[16:17]
	;; [unrolled: 1-line block ×14, first 2 shown]
	v_add_f64 v[14:15], v[14:15], v[22:23]
	v_add_f64 v[12:13], v[12:13], v[24:25]
	v_mul_f64 v[140:141], v[74:75], s[0:1]
	v_mul_f64 v[142:143], v[70:71], s[4:5]
	v_mul_f64 v[144:145], v[74:75], s[26:27]
	v_mul_f64 v[146:147], v[70:71], s[28:29]
	v_mul_f64 v[74:75], v[74:75], s[14:15]
	v_mul_f64 v[70:71], v[70:71], s[10:11]
	v_mul_f64 v[148:149], v[82:83], s[26:27]
	v_mul_f64 v[150:151], v[78:79], s[28:29]
	v_mul_f64 v[152:153], v[82:83], s[6:7]
	v_mul_f64 v[154:155], v[78:79], s[4:5]
	v_mul_f64 v[156:157], v[82:83], s[20:21]
	v_mul_f64 v[158:159], v[78:79], s[22:23]
	v_mul_f64 v[160:161], v[82:83], s[14:15]
	v_mul_f64 v[162:163], v[78:79], s[10:11]
	v_mul_f64 v[82:83], v[82:83], s[12:13]
	v_mul_f64 v[78:79], v[78:79], s[16:17]
	v_fma_f64 v[88:89], v[50:51], s[10:11], -v[88:89]
	v_fma_f64 v[168:169], v[50:51], s[16:17], v[92:93]
	v_fma_f64 v[170:171], v[44:45], s[18:19], v[94:95]
	v_fma_f64 v[92:93], v[50:51], s[16:17], -v[92:93]
	v_fma_f64 v[172:173], v[50:51], s[22:23], v[96:97]
	v_fma_f64 v[174:175], v[44:45], s[24:25], v[98:99]
	;; [unrolled: 3-line block ×3, first 2 shown]
	v_fma_f64 v[90:91], v[44:45], s[8:9], v[90:91]
	v_fma_f64 v[94:95], v[44:45], s[12:13], v[94:95]
	;; [unrolled: 1-line block ×3, first 2 shown]
	v_fma_f64 v[42:43], v[50:51], s[28:29], -v[42:43]
	v_fma_f64 v[44:45], v[44:45], s[26:27], v[46:47]
	v_add_f64 v[14:15], v[14:15], v[30:31]
	v_add_f64 v[12:13], v[12:13], v[32:33]
	v_fma_f64 v[46:47], v[52:53], s[10:11], v[100:101]
	v_fma_f64 v[50:51], v[56:57], s[14:15], v[102:103]
	v_add_f64 v[16:17], v[0:1], v[16:17]
	v_add_f64 v[30:31], v[2:3], v[38:39]
	v_fma_f64 v[100:101], v[52:53], s[10:11], -v[100:101]
	v_fma_f64 v[102:103], v[56:57], s[8:9], v[102:103]
	v_fma_f64 v[180:181], v[52:53], s[22:23], v[104:105]
	v_fma_f64 v[182:183], v[56:57], s[24:25], v[106:107]
	v_add_f64 v[32:33], v[0:1], v[40:41]
	v_add_f64 v[38:39], v[2:3], v[48:49]
	;; [unrolled: 1-line block ×4, first 2 shown]
	v_fma_f64 v[104:105], v[52:53], s[22:23], -v[104:105]
	v_fma_f64 v[106:107], v[56:57], s[20:21], v[106:107]
	v_fma_f64 v[184:185], v[52:53], s[28:29], v[108:109]
	v_fma_f64 v[186:187], v[56:57], s[26:27], v[110:111]
	v_fma_f64 v[108:109], v[52:53], s[28:29], -v[108:109]
	v_fma_f64 v[110:111], v[56:57], s[30:31], v[110:111]
	v_fma_f64 v[188:189], v[52:53], s[16:17], v[112:113]
	v_fma_f64 v[190:191], v[56:57], s[12:13], v[114:115]
	;; [unrolled: 4-line block ×18, first 2 shown]
	v_fma_f64 v[76:77], v[76:77], s[16:17], -v[82:83]
	v_fma_f64 v[78:79], v[80:81], s[12:13], v[78:79]
	v_add_f64 v[80:81], v[0:1], v[88:89]
	v_add_f64 v[82:83], v[0:1], v[168:169]
	v_add_f64 v[88:89], v[2:3], v[170:171]
	v_add_f64 v[92:93], v[0:1], v[92:93]
	v_add_f64 v[164:165], v[0:1], v[172:173]
	v_add_f64 v[166:167], v[2:3], v[174:175]
	v_add_f64 v[96:97], v[0:1], v[96:97]
	v_add_f64 v[168:169], v[0:1], v[176:177]
	v_add_f64 v[170:171], v[2:3], v[178:179]
	v_add_f64 v[0:1], v[0:1], v[42:43]
	v_add_f64 v[42:43], v[2:3], v[44:45]
	v_add_f64 v[44:45], v[2:3], v[98:99]
	v_add_f64 v[94:95], v[2:3], v[94:95]
	v_add_f64 v[2:3], v[2:3], v[90:91]
	v_add_f64 v[14:15], v[14:15], v[34:35]
	v_add_f64 v[12:13], v[12:13], v[36:37]
	v_add_f64 v[16:17], v[46:47], v[16:17]
	v_add_f64 v[30:31], v[50:51], v[30:31]
	v_add_f64 v[32:33], v[100:101], v[32:33]
	v_add_f64 v[34:35], v[102:103], v[38:39]
	v_add_f64 v[36:37], v[180:181], v[40:41]
	v_add_f64 v[38:39], v[182:183], v[48:49]
	v_add_f64 v[40:41], v[104:105], v[80:81]
	v_add_f64 v[46:47], v[184:185], v[82:83]
	v_add_f64 v[48:49], v[186:187], v[88:89]
	v_add_f64 v[50:51], v[108:109], v[92:93]
	v_add_f64 v[80:81], v[188:189], v[164:165]
	v_add_f64 v[82:83], v[190:191], v[166:167]
	v_add_f64 v[88:89], v[112:113], v[96:97]
	v_add_f64 v[90:91], v[192:193], v[168:169]
	v_add_f64 v[92:93], v[194:195], v[170:171]
	v_add_f64 v[0:1], v[52:53], v[0:1]
	v_add_f64 v[42:43], v[54:55], v[42:43]
	v_add_f64 v[44:45], v[114:115], v[44:45]
	v_add_f64 v[52:53], v[110:111], v[94:95]
	v_add_f64 v[2:3], v[106:107], v[2:3]
	v_add_f64 v[14:15], v[14:15], v[26:27]
	v_add_f64 v[12:13], v[12:13], v[28:29]
	v_add_f64 v[16:17], v[56:57], v[16:17]
	v_add_f64 v[26:27], v[58:59], v[30:31]
	v_add_f64 v[28:29], v[116:117], v[32:33]
	v_add_f64 v[30:31], v[118:119], v[34:35]
	v_add_f64 v[32:33], v[196:197], v[36:37]
	v_add_f64 v[34:35], v[198:199], v[38:39]
	v_add_f64 v[36:37], v[120:121], v[40:41]
	v_add_f64 v[38:39], v[200:201], v[46:47]
	v_add_f64 v[40:41], v[202:203], v[48:49]
	v_add_f64 v[46:47], v[124:125], v[50:51]
	v_add_f64 v[48:49], v[204:205], v[80:81]
	v_add_f64 v[50:51], v[206:207], v[82:83]
	v_add_f64 v[54:55], v[128:129], v[88:89]
	v_add_f64 v[56:57], v[208:209], v[90:91]
	v_add_f64 v[58:59], v[210:211], v[92:93]
	v_add_f64 v[0:1], v[60:61], v[0:1]
	v_add_f64 v[42:43], v[62:63], v[42:43]
	v_add_f64 v[44:45], v[130:131], v[44:45]
	v_add_f64 v[52:53], v[126:127], v[52:53]
	v_add_f64 v[2:3], v[122:123], v[2:3]
	v_add_f64 v[14:15], v[14:15], v[18:19]
	v_add_f64 v[12:13], v[12:13], v[20:21]
	v_add_f64 v[16:17], v[64:65], v[16:17]
	v_add_f64 v[18:19], v[66:67], v[26:27]
	v_add_f64 v[20:21], v[132:133], v[28:29]
	v_add_f64 v[26:27], v[134:135], v[30:31]
	v_add_f64 v[28:29], v[212:213], v[32:33]
	v_add_f64 v[30:31], v[214:215], v[34:35]
	v_add_f64 v[32:33], v[136:137], v[36:37]
	v_add_f64 v[34:35], v[217:218], v[38:39]
	v_add_f64 v[36:37], v[219:220], v[40:41]
	v_add_f64 v[38:39], v[140:141], v[46:47]
	v_add_f64 v[40:41], v[221:222], v[48:49]
	v_add_f64 v[46:47], v[223:224], v[50:51]
	v_add_f64 v[48:49], v[144:145], v[54:55]
	v_add_f64 v[50:51], v[225:226], v[56:57]
	v_add_f64 v[54:55], v[227:228], v[58:59]
	v_add_f64 v[56:57], v[68:69], v[0:1]
	v_add_f64 v[42:43], v[70:71], v[42:43]
	v_add_f64 v[44:45], v[146:147], v[44:45]
	v_add_f64 v[52:53], v[142:143], v[52:53]
	v_add_f64 v[58:59], v[138:139], v[2:3]
	v_add_f64 v[60:61], v[14:15], v[8:9]
	v_add_f64 v[62:63], v[12:13], v[10:11]
	v_add_f64 v[0:1], v[22:23], v[16:17]
	v_add_f64 v[2:3], v[24:25], v[18:19]
	v_add_f64 v[8:9], v[72:73], v[20:21]
	v_add_f64 v[10:11], v[74:75], v[26:27]
	v_add_f64 v[12:13], v[148:149], v[28:29]
	v_add_f64 v[14:15], v[150:151], v[30:31]
	v_add_f64 v[16:17], v[152:153], v[32:33]
	v_add_f64 v[20:21], v[229:230], v[34:35]
	v_add_f64 v[22:23], v[231:232], v[36:37]
	v_add_f64 v[24:25], v[156:157], v[38:39]
	v_add_f64 v[28:29], v[233:234], v[40:41]
	v_add_f64 v[30:31], v[235:236], v[46:47]
	v_add_f64 v[32:33], v[160:161], v[48:49]
	v_add_f64 v[36:37], v[237:238], v[50:51]
	v_add_f64 v[38:39], v[239:240], v[54:55]
	v_add_f64 v[40:41], v[76:77], v[56:57]
	v_add_f64 v[42:43], v[78:79], v[42:43]
	v_add_f64 v[34:35], v[162:163], v[44:45]
	v_add_f64 v[26:27], v[158:159], v[52:53]
	v_add_f64 v[18:19], v[154:155], v[58:59]
	v_add_f64 v[44:45], v[60:61], v[6:7]
	v_add_f64 v[46:47], v[62:63], v[4:5]
	ds_write_b128 v85, v[0:3] offset:1088
	ds_write_b128 v85, v[12:15] offset:2176
	;; [unrolled: 1-line block ×10, first 2 shown]
	ds_write_b128 v85, v[44:47]
	s_waitcnt lgkmcnt(0)
	s_barrier
	buffer_gl0_inv
	s_and_saveexec_b32 s0, vcc_lo
	s_cbranch_execz .LBB0_26
; %bb.25:
	v_lshl_add_u32 v28, v84, 4, v216
	v_mov_b32_e32 v85, 0
	v_add_nc_u32_e32 v8, 0x44, v84
	v_add_co_u32 v30, vcc_lo, s2, v86
	ds_read_b128 v[0:3], v28
	ds_read_b128 v[4:7], v28 offset:1088
	v_mov_b32_e32 v9, v85
	v_lshlrev_b64 v[10:11], 4, v[84:85]
	v_add_co_ci_u32_e32 v31, vcc_lo, s3, v87, vcc_lo
	v_add_nc_u32_e32 v12, 0x88, v84
	v_lshlrev_b64 v[8:9], 4, v[8:9]
	v_mov_b32_e32 v13, v85
	v_add_co_u32 v10, vcc_lo, v30, v10
	v_add_co_ci_u32_e32 v11, vcc_lo, v31, v11, vcc_lo
	v_add_co_u32 v8, vcc_lo, v30, v8
	v_add_co_ci_u32_e32 v9, vcc_lo, v31, v9, vcc_lo
	v_lshlrev_b64 v[12:13], 4, v[12:13]
	v_add_nc_u32_e32 v14, 0xcc, v84
	v_mov_b32_e32 v15, v85
	v_add_nc_u32_e32 v22, 0x154, v84
	s_waitcnt lgkmcnt(1)
	global_store_dwordx4 v[10:11], v[0:3], off
	s_waitcnt lgkmcnt(0)
	global_store_dwordx4 v[8:9], v[4:7], off
	v_add_nc_u32_e32 v8, 0x110, v84
	v_mov_b32_e32 v9, v85
	ds_read_b128 v[0:3], v28 offset:2176
	ds_read_b128 v[4:7], v28 offset:3264
	v_add_co_u32 v16, vcc_lo, v30, v12
	v_add_co_ci_u32_e32 v17, vcc_lo, v31, v13, vcc_lo
	v_lshlrev_b64 v[18:19], 4, v[14:15]
	v_lshlrev_b64 v[20:21], 4, v[8:9]
	ds_read_b128 v[8:11], v28 offset:4352
	ds_read_b128 v[12:15], v28 offset:5440
	v_mov_b32_e32 v23, v85
	v_add_nc_u32_e32 v24, 0x198, v84
	v_mov_b32_e32 v25, v85
	v_add_co_u32 v18, vcc_lo, v30, v18
	v_lshlrev_b64 v[22:23], 4, v[22:23]
	v_add_co_ci_u32_e32 v19, vcc_lo, v31, v19, vcc_lo
	v_add_co_u32 v20, vcc_lo, v30, v20
	v_add_co_ci_u32_e32 v21, vcc_lo, v31, v21, vcc_lo
	v_add_co_u32 v22, vcc_lo, v30, v22
	s_waitcnt lgkmcnt(3)
	global_store_dwordx4 v[16:17], v[0:3], off
	s_waitcnt lgkmcnt(2)
	global_store_dwordx4 v[18:19], v[4:7], off
	v_add_nc_u32_e32 v2, 0x1dc, v84
	v_mov_b32_e32 v3, v85
	v_add_co_ci_u32_e32 v23, vcc_lo, v31, v23, vcc_lo
	v_lshlrev_b64 v[0:1], 4, v[24:25]
	s_waitcnt lgkmcnt(1)
	global_store_dwordx4 v[20:21], v[8:11], off
	s_waitcnt lgkmcnt(0)
	global_store_dwordx4 v[22:23], v[12:15], off
	v_lshlrev_b64 v[8:9], 4, v[2:3]
	v_add_nc_u32_e32 v10, 0x220, v84
	v_mov_b32_e32 v11, v85
	v_add_co_u32 v20, vcc_lo, v30, v0
	v_add_co_ci_u32_e32 v21, vcc_lo, v31, v1, vcc_lo
	v_add_co_u32 v22, vcc_lo, v30, v8
	ds_read_b128 v[0:3], v28 offset:6528
	ds_read_b128 v[4:7], v28 offset:7616
	v_add_co_ci_u32_e32 v23, vcc_lo, v31, v9, vcc_lo
	v_lshlrev_b64 v[26:27], 4, v[10:11]
	ds_read_b128 v[8:11], v28 offset:8704
	ds_read_b128 v[12:15], v28 offset:9792
	;; [unrolled: 1-line block ×3, first 2 shown]
	v_add_nc_u32_e32 v24, 0x264, v84
	v_add_nc_u32_e32 v84, 0x2a8, v84
	v_add_co_u32 v26, vcc_lo, v30, v26
	v_lshlrev_b64 v[24:25], 4, v[24:25]
	v_lshlrev_b64 v[28:29], 4, v[84:85]
	v_add_co_ci_u32_e32 v27, vcc_lo, v31, v27, vcc_lo
	v_add_co_u32 v24, vcc_lo, v30, v24
	v_add_co_ci_u32_e32 v25, vcc_lo, v31, v25, vcc_lo
	v_add_co_u32 v28, vcc_lo, v30, v28
	v_add_co_ci_u32_e32 v29, vcc_lo, v31, v29, vcc_lo
	s_waitcnt lgkmcnt(4)
	global_store_dwordx4 v[20:21], v[0:3], off
	s_waitcnt lgkmcnt(3)
	global_store_dwordx4 v[22:23], v[4:7], off
	;; [unrolled: 2-line block ×5, first 2 shown]
.LBB0_26:
	s_endpgm
	.section	.rodata,"a",@progbits
	.p2align	6, 0x0
	.amdhsa_kernel fft_rtc_back_len748_factors_17_4_11_wgs_204_tpt_68_halfLds_dp_ip_CI_unitstride_sbrr_C2R_dirReg
		.amdhsa_group_segment_fixed_size 0
		.amdhsa_private_segment_fixed_size 0
		.amdhsa_kernarg_size 88
		.amdhsa_user_sgpr_count 6
		.amdhsa_user_sgpr_private_segment_buffer 1
		.amdhsa_user_sgpr_dispatch_ptr 0
		.amdhsa_user_sgpr_queue_ptr 0
		.amdhsa_user_sgpr_kernarg_segment_ptr 1
		.amdhsa_user_sgpr_dispatch_id 0
		.amdhsa_user_sgpr_flat_scratch_init 0
		.amdhsa_user_sgpr_private_segment_size 0
		.amdhsa_wavefront_size32 1
		.amdhsa_uses_dynamic_stack 0
		.amdhsa_system_sgpr_private_segment_wavefront_offset 0
		.amdhsa_system_sgpr_workgroup_id_x 1
		.amdhsa_system_sgpr_workgroup_id_y 0
		.amdhsa_system_sgpr_workgroup_id_z 0
		.amdhsa_system_sgpr_workgroup_info 0
		.amdhsa_system_vgpr_workitem_id 0
		.amdhsa_next_free_vgpr 251
		.amdhsa_next_free_sgpr 56
		.amdhsa_reserve_vcc 1
		.amdhsa_reserve_flat_scratch 0
		.amdhsa_float_round_mode_32 0
		.amdhsa_float_round_mode_16_64 0
		.amdhsa_float_denorm_mode_32 3
		.amdhsa_float_denorm_mode_16_64 3
		.amdhsa_dx10_clamp 1
		.amdhsa_ieee_mode 1
		.amdhsa_fp16_overflow 0
		.amdhsa_workgroup_processor_mode 1
		.amdhsa_memory_ordered 1
		.amdhsa_forward_progress 0
		.amdhsa_shared_vgpr_count 0
		.amdhsa_exception_fp_ieee_invalid_op 0
		.amdhsa_exception_fp_denorm_src 0
		.amdhsa_exception_fp_ieee_div_zero 0
		.amdhsa_exception_fp_ieee_overflow 0
		.amdhsa_exception_fp_ieee_underflow 0
		.amdhsa_exception_fp_ieee_inexact 0
		.amdhsa_exception_int_div_zero 0
	.end_amdhsa_kernel
	.text
.Lfunc_end0:
	.size	fft_rtc_back_len748_factors_17_4_11_wgs_204_tpt_68_halfLds_dp_ip_CI_unitstride_sbrr_C2R_dirReg, .Lfunc_end0-fft_rtc_back_len748_factors_17_4_11_wgs_204_tpt_68_halfLds_dp_ip_CI_unitstride_sbrr_C2R_dirReg
                                        ; -- End function
	.section	.AMDGPU.csdata,"",@progbits
; Kernel info:
; codeLenInByte = 14508
; NumSgprs: 58
; NumVgprs: 251
; ScratchSize: 0
; MemoryBound: 0
; FloatMode: 240
; IeeeMode: 1
; LDSByteSize: 0 bytes/workgroup (compile time only)
; SGPRBlocks: 7
; VGPRBlocks: 31
; NumSGPRsForWavesPerEU: 58
; NumVGPRsForWavesPerEU: 251
; Occupancy: 4
; WaveLimiterHint : 1
; COMPUTE_PGM_RSRC2:SCRATCH_EN: 0
; COMPUTE_PGM_RSRC2:USER_SGPR: 6
; COMPUTE_PGM_RSRC2:TRAP_HANDLER: 0
; COMPUTE_PGM_RSRC2:TGID_X_EN: 1
; COMPUTE_PGM_RSRC2:TGID_Y_EN: 0
; COMPUTE_PGM_RSRC2:TGID_Z_EN: 0
; COMPUTE_PGM_RSRC2:TIDIG_COMP_CNT: 0
	.text
	.p2alignl 6, 3214868480
	.fill 48, 4, 3214868480
	.type	__hip_cuid_4876138587af8f30,@object ; @__hip_cuid_4876138587af8f30
	.section	.bss,"aw",@nobits
	.globl	__hip_cuid_4876138587af8f30
__hip_cuid_4876138587af8f30:
	.byte	0                               ; 0x0
	.size	__hip_cuid_4876138587af8f30, 1

	.ident	"AMD clang version 19.0.0git (https://github.com/RadeonOpenCompute/llvm-project roc-6.4.0 25133 c7fe45cf4b819c5991fe208aaa96edf142730f1d)"
	.section	".note.GNU-stack","",@progbits
	.addrsig
	.addrsig_sym __hip_cuid_4876138587af8f30
	.amdgpu_metadata
---
amdhsa.kernels:
  - .args:
      - .actual_access:  read_only
        .address_space:  global
        .offset:         0
        .size:           8
        .value_kind:     global_buffer
      - .offset:         8
        .size:           8
        .value_kind:     by_value
      - .actual_access:  read_only
        .address_space:  global
        .offset:         16
        .size:           8
        .value_kind:     global_buffer
      - .actual_access:  read_only
        .address_space:  global
        .offset:         24
        .size:           8
        .value_kind:     global_buffer
      - .offset:         32
        .size:           8
        .value_kind:     by_value
      - .actual_access:  read_only
        .address_space:  global
        .offset:         40
        .size:           8
        .value_kind:     global_buffer
      - .actual_access:  read_only
        .address_space:  global
        .offset:         48
        .size:           8
        .value_kind:     global_buffer
      - .offset:         56
        .size:           4
        .value_kind:     by_value
      - .actual_access:  read_only
        .address_space:  global
        .offset:         64
        .size:           8
        .value_kind:     global_buffer
      - .actual_access:  read_only
        .address_space:  global
        .offset:         72
        .size:           8
        .value_kind:     global_buffer
      - .address_space:  global
        .offset:         80
        .size:           8
        .value_kind:     global_buffer
    .group_segment_fixed_size: 0
    .kernarg_segment_align: 8
    .kernarg_segment_size: 88
    .language:       OpenCL C
    .language_version:
      - 2
      - 0
    .max_flat_workgroup_size: 204
    .name:           fft_rtc_back_len748_factors_17_4_11_wgs_204_tpt_68_halfLds_dp_ip_CI_unitstride_sbrr_C2R_dirReg
    .private_segment_fixed_size: 0
    .sgpr_count:     58
    .sgpr_spill_count: 0
    .symbol:         fft_rtc_back_len748_factors_17_4_11_wgs_204_tpt_68_halfLds_dp_ip_CI_unitstride_sbrr_C2R_dirReg.kd
    .uniform_work_group_size: 1
    .uses_dynamic_stack: false
    .vgpr_count:     251
    .vgpr_spill_count: 0
    .wavefront_size: 32
    .workgroup_processor_mode: 1
amdhsa.target:   amdgcn-amd-amdhsa--gfx1030
amdhsa.version:
  - 1
  - 2
...

	.end_amdgpu_metadata
